;; amdgpu-corpus repo=ROCm/rocFFT kind=compiled arch=gfx90a opt=O3
	.text
	.amdgcn_target "amdgcn-amd-amdhsa--gfx90a"
	.amdhsa_code_object_version 6
	.protected	bluestein_single_back_len900_dim1_dp_op_CI_CI ; -- Begin function bluestein_single_back_len900_dim1_dp_op_CI_CI
	.globl	bluestein_single_back_len900_dim1_dp_op_CI_CI
	.p2align	8
	.type	bluestein_single_back_len900_dim1_dp_op_CI_CI,@function
bluestein_single_back_len900_dim1_dp_op_CI_CI: ; @bluestein_single_back_len900_dim1_dp_op_CI_CI
; %bb.0:
	s_load_dwordx4 s[16:19], s[4:5], 0x28
	v_mul_u32_u24_e32 v1, 0x2d9, v0
	v_lshrrev_b32_e32 v52, 16, v1
	v_mov_b32_e32 v189, 0
	v_lshl_add_u32 v190, s6, 1, v52
	v_mov_b32_e32 v191, v189
	s_waitcnt lgkmcnt(0)
	v_cmp_gt_u64_e32 vcc, s[16:17], v[190:191]
	s_and_saveexec_b64 s[0:1], vcc
	s_cbranch_execz .LBB0_18
; %bb.1:
	s_load_dwordx4 s[8:11], s[4:5], 0x18
	v_mul_lo_u16_e32 v1, 0x5a, v52
	v_sub_u16_e32 v188, v0, v1
	v_mov_b32_e32 v78, 0x5a0
	v_lshlrev_b32_e32 v53, 4, v188
	s_waitcnt lgkmcnt(0)
	s_load_dwordx4 s[0:3], s[8:9], 0x0
	s_load_dwordx4 s[12:15], s[4:5], 0x0
	v_and_b32_e32 v52, 1, v52
	s_mov_b32 s20, 0x134454ff
	s_mov_b32 s21, 0x3fee6f0e
	s_waitcnt lgkmcnt(0)
	v_mad_u64_u32 v[0:1], s[6:7], s2, v190, 0
	v_mov_b32_e32 v4, v1
	v_mad_u64_u32 v[2:3], s[6:7], s0, v188, 0
	v_mad_u64_u32 v[4:5], s[2:3], s3, v190, v[4:5]
	v_mov_b32_e32 v6, v3
	v_mov_b32_e32 v1, v4
	v_mad_u64_u32 v[4:5], s[2:3], s1, v188, v[6:7]
	v_lshlrev_b64 v[0:1], 4, v[0:1]
	v_mov_b32_e32 v3, v4
	v_mov_b32_e32 v4, s19
	v_add_co_u32_e32 v5, vcc, s18, v0
	v_addc_co_u32_e32 v4, vcc, v4, v1, vcc
	v_lshlrev_b64 v[0:1], 4, v[2:3]
	v_add_co_u32_e32 v0, vcc, v5, v0
	v_addc_co_u32_e32 v1, vcc, v4, v1, vcc
	v_mad_u64_u32 v[4:5], s[6:7], s0, v78, v[0:1]
	s_mulk_i32 s1, 0x5a0
	v_add_u32_e32 v5, s1, v5
	v_mad_u64_u32 v[6:7], s[6:7], s0, v78, v[4:5]
	global_load_dwordx4 v[40:43], v[0:1], off
	v_add_u32_e32 v7, s1, v7
	v_mov_b32_e32 v2, s13
	v_add_co_u32_e64 v198, s[2:3], s12, v53
	global_load_dwordx4 v[24:27], v53, s[12:13]
	global_load_dwordx4 v[16:19], v53, s[12:13] offset:1440
	v_mad_u64_u32 v[8:9], s[6:7], s0, v78, v[6:7]
	v_addc_co_u32_e64 v82, vcc, 0, v2, s[2:3]
	v_add_u32_e32 v9, s1, v9
	s_movk_i32 s6, 0x1000
	v_add_co_u32_e32 v12, vcc, s6, v198
	v_mad_u64_u32 v[10:11], s[6:7], s0, v78, v[8:9]
	global_load_dwordx4 v[48:51], v[4:5], off
	global_load_dwordx4 v[44:47], v[6:7], off
	global_load_dwordx4 v[0:3], v53, s[12:13] offset:2880
	v_add_u32_e32 v11, s1, v11
	v_addc_co_u32_e32 v13, vcc, 0, v82, vcc
	global_load_dwordx4 v[54:57], v[8:9], off
	global_load_dwordx4 v[58:61], v[10:11], off
	global_load_dwordx4 v[32:35], v[12:13], off offset:224
	global_load_dwordx4 v[4:7], v[12:13], off offset:1664
	v_mad_u64_u32 v[8:9], s[6:7], s0, v78, v[10:11]
	v_add_u32_e32 v9, s1, v9
	v_mad_u64_u32 v[14:15], s[6:7], s0, v78, v[8:9]
	s_movk_i32 s6, 0x2000
	v_add_u32_e32 v15, s1, v15
	v_add_co_u32_e32 v20, vcc, s6, v198
	global_load_dwordx4 v[62:65], v[8:9], off
	global_load_dwordx4 v[66:69], v[14:15], off
	v_addc_co_u32_e32 v21, vcc, 0, v82, vcc
	global_load_dwordx4 v[28:31], v[12:13], off offset:3104
	global_load_dwordx4 v[8:11], v[20:21], off offset:448
	v_mad_u64_u32 v[12:13], s[6:7], s0, v78, v[14:15]
	v_add_u32_e32 v13, s1, v13
	v_mad_u64_u32 v[22:23], s[6:7], s0, v78, v[12:13]
	v_add_u32_e32 v23, s1, v23
	global_load_dwordx4 v[70:73], v[12:13], off
	global_load_dwordx4 v[74:77], v[22:23], off
	global_load_dwordx4 v[36:39], v[20:21], off offset:1888
	s_nop 0
	global_load_dwordx4 v[12:15], v[20:21], off offset:3328
	v_mad_u64_u32 v[20:21], s[6:7], s0, v78, v[22:23]
	v_add_u32_e32 v21, s1, v21
	s_movk_i32 s0, 0x3000
	global_load_dwordx4 v[78:81], v[20:21], off
	v_add_co_u32_e32 v20, vcc, s0, v198
	v_addc_co_u32_e32 v21, vcc, 0, v82, vcc
	global_load_dwordx4 v[20:23], v[20:21], off offset:672
	v_mov_b32_e32 v82, 0x384
	v_cmp_eq_u32_e32 vcc, 1, v52
	v_cndmask_b32_e32 v52, 0, v82, vcc
	v_lshlrev_b32_e32 v203, 4, v52
	v_add_u32_e32 v191, v203, v53
	s_load_dwordx4 s[8:11], s[10:11], 0x0
	s_mov_b32 s22, 0x4755a5e
	s_mov_b32 s7, 0xbfee6f0e
	s_mov_b32 s6, s20
	s_mov_b32 s23, 0x3fe2cf23
	s_mov_b32 s0, 0x372fe950
	s_mov_b32 s19, 0xbfe2cf23
	s_mov_b32 s18, s22
	s_mov_b32 s1, 0x3fd3c6ef
	s_mov_b32 s24, 0x9b97f4a8
	s_mov_b32 s25, 0x3fe9e377
	s_movk_i32 s12, 0xcd
	s_waitcnt vmcnt(18)
	v_mul_f64 v[82:83], v[42:43], v[26:27]
	v_fmac_f64_e32 v[82:83], v[40:41], v[24:25]
	v_mul_f64 v[40:41], v[40:41], v[26:27]
	v_fma_f64 v[84:85], v[42:43], v[24:25], -v[40:41]
	ds_write_b128 v191, v[82:85]
	s_waitcnt vmcnt(16)
	v_mul_f64 v[40:41], v[50:51], v[18:19]
	v_mul_f64 v[42:43], v[48:49], v[18:19]
	v_fmac_f64_e32 v[40:41], v[48:49], v[16:17]
	v_fma_f64 v[42:43], v[50:51], v[16:17], -v[42:43]
	ds_write_b128 v191, v[40:43] offset:1440
	s_waitcnt vmcnt(14)
	v_mul_f64 v[40:41], v[46:47], v[2:3]
	v_mul_f64 v[42:43], v[44:45], v[2:3]
	v_fmac_f64_e32 v[40:41], v[44:45], v[0:1]
	v_fma_f64 v[42:43], v[46:47], v[0:1], -v[42:43]
	ds_write_b128 v191, v[40:43] offset:2880
	s_waitcnt vmcnt(11)
	v_mul_f64 v[40:41], v[56:57], v[34:35]
	v_mul_f64 v[42:43], v[54:55], v[34:35]
	v_fmac_f64_e32 v[40:41], v[54:55], v[32:33]
	v_fma_f64 v[42:43], v[56:57], v[32:33], -v[42:43]
	ds_write_b128 v191, v[40:43] offset:4320
	s_waitcnt vmcnt(10)
	v_mul_f64 v[40:41], v[60:61], v[6:7]
	v_mul_f64 v[42:43], v[58:59], v[6:7]
	v_fmac_f64_e32 v[40:41], v[58:59], v[4:5]
	v_fma_f64 v[42:43], v[60:61], v[4:5], -v[42:43]
	ds_write_b128 v191, v[40:43] offset:5760
	s_waitcnt vmcnt(7)
	v_mul_f64 v[40:41], v[64:65], v[30:31]
	v_mul_f64 v[42:43], v[62:63], v[30:31]
	v_fmac_f64_e32 v[40:41], v[62:63], v[28:29]
	v_fma_f64 v[42:43], v[64:65], v[28:29], -v[42:43]
	ds_write_b128 v191, v[40:43] offset:7200
	s_waitcnt vmcnt(6)
	v_mul_f64 v[40:41], v[68:69], v[10:11]
	v_mul_f64 v[42:43], v[66:67], v[10:11]
	v_fmac_f64_e32 v[40:41], v[66:67], v[8:9]
	v_fma_f64 v[42:43], v[68:69], v[8:9], -v[42:43]
	ds_write_b128 v191, v[40:43] offset:8640
	s_waitcnt vmcnt(3)
	v_mul_f64 v[40:41], v[72:73], v[38:39]
	v_mul_f64 v[42:43], v[70:71], v[38:39]
	v_fmac_f64_e32 v[40:41], v[70:71], v[36:37]
	v_fma_f64 v[42:43], v[72:73], v[36:37], -v[42:43]
	ds_write_b128 v191, v[40:43] offset:10080
	s_waitcnt vmcnt(2)
	v_mul_f64 v[40:41], v[76:77], v[14:15]
	v_mul_f64 v[42:43], v[74:75], v[14:15]
	v_fmac_f64_e32 v[40:41], v[74:75], v[12:13]
	v_fma_f64 v[42:43], v[76:77], v[12:13], -v[42:43]
	ds_write_b128 v191, v[40:43] offset:11520
	s_waitcnt vmcnt(0)
	v_mul_f64 v[40:41], v[80:81], v[22:23]
	v_mul_f64 v[42:43], v[78:79], v[22:23]
	v_fmac_f64_e32 v[40:41], v[78:79], v[20:21]
	v_fma_f64 v[42:43], v[80:81], v[20:21], -v[42:43]
	ds_write_b128 v191, v[40:43] offset:12960
	s_waitcnt lgkmcnt(0)
	s_barrier
	ds_read_b128 v[40:43], v191
	ds_read_b128 v[44:47], v191 offset:1440
	ds_read_b128 v[48:51], v191 offset:2880
	;; [unrolled: 1-line block ×9, first 2 shown]
	s_waitcnt lgkmcnt(5)
	v_add_f64 v[90:91], v[48:49], -v[56:57]
	s_waitcnt lgkmcnt(3)
	v_add_f64 v[82:83], v[56:57], v[64:65]
	v_fma_f64 v[82:83], -0.5, v[82:83], v[40:41]
	s_waitcnt lgkmcnt(1)
	v_add_f64 v[84:85], v[50:51], -v[74:75]
	v_fma_f64 v[86:87], s[20:21], v[84:85], v[82:83]
	v_add_f64 v[88:89], v[58:59], -v[66:67]
	v_add_f64 v[92:93], v[72:73], -v[64:65]
	v_fmac_f64_e32 v[82:83], s[6:7], v[84:85]
	v_fmac_f64_e32 v[86:87], s[22:23], v[88:89]
	v_add_f64 v[90:91], v[90:91], v[92:93]
	v_fmac_f64_e32 v[82:83], s[18:19], v[88:89]
	v_fmac_f64_e32 v[86:87], s[0:1], v[90:91]
	;; [unrolled: 1-line block ×3, first 2 shown]
	v_add_f64 v[90:91], v[48:49], v[72:73]
	v_add_f64 v[80:81], v[40:41], v[48:49]
	v_fmac_f64_e32 v[40:41], -0.5, v[90:91]
	v_add_f64 v[80:81], v[80:81], v[56:57]
	v_fma_f64 v[90:91], s[6:7], v[88:89], v[40:41]
	v_add_f64 v[92:93], v[56:57], -v[48:49]
	v_add_f64 v[94:95], v[64:65], -v[72:73]
	v_fmac_f64_e32 v[40:41], s[20:21], v[88:89]
	v_add_f64 v[88:89], v[58:59], v[66:67]
	v_add_f64 v[80:81], v[80:81], v[64:65]
	v_fmac_f64_e32 v[90:91], s[22:23], v[84:85]
	v_add_f64 v[92:93], v[92:93], v[94:95]
	v_fmac_f64_e32 v[40:41], s[18:19], v[84:85]
	v_fma_f64 v[88:89], -0.5, v[88:89], v[42:43]
	v_add_f64 v[48:49], v[48:49], -v[72:73]
	v_add_f64 v[80:81], v[80:81], v[72:73]
	v_fmac_f64_e32 v[90:91], s[0:1], v[92:93]
	v_fmac_f64_e32 v[40:41], s[0:1], v[92:93]
	v_fma_f64 v[92:93], s[6:7], v[48:49], v[88:89]
	v_add_f64 v[56:57], v[56:57], -v[64:65]
	v_add_f64 v[64:65], v[50:51], -v[58:59]
	;; [unrolled: 1-line block ×3, first 2 shown]
	v_fmac_f64_e32 v[88:89], s[20:21], v[48:49]
	v_fmac_f64_e32 v[92:93], s[18:19], v[56:57]
	v_add_f64 v[64:65], v[64:65], v[72:73]
	v_fmac_f64_e32 v[88:89], s[22:23], v[56:57]
	v_fmac_f64_e32 v[92:93], s[0:1], v[64:65]
	;; [unrolled: 1-line block ×3, first 2 shown]
	v_add_f64 v[64:65], v[50:51], v[74:75]
	v_add_f64 v[84:85], v[42:43], v[50:51]
	v_fmac_f64_e32 v[42:43], -0.5, v[64:65]
	v_fma_f64 v[94:95], s[20:21], v[56:57], v[42:43]
	v_fmac_f64_e32 v[42:43], s[6:7], v[56:57]
	v_fmac_f64_e32 v[94:95], s[18:19], v[48:49]
	v_fmac_f64_e32 v[42:43], s[22:23], v[48:49]
	v_add_f64 v[48:49], v[44:45], v[52:53]
	v_add_f64 v[48:49], v[48:49], v[60:61]
	v_add_f64 v[48:49], v[48:49], v[68:69]
	v_add_f64 v[84:85], v[84:85], v[58:59]
	v_add_f64 v[50:51], v[58:59], -v[50:51]
	v_add_f64 v[58:59], v[66:67], -v[74:75]
	s_waitcnt lgkmcnt(0)
	v_add_f64 v[72:73], v[48:49], v[76:77]
	v_add_f64 v[48:49], v[60:61], v[68:69]
	;; [unrolled: 1-line block ×4, first 2 shown]
	v_fma_f64 v[66:67], -0.5, v[48:49], v[44:45]
	v_add_f64 v[48:49], v[54:55], -v[78:79]
	v_fmac_f64_e32 v[94:95], s[0:1], v[50:51]
	v_fmac_f64_e32 v[42:43], s[0:1], v[50:51]
	v_fma_f64 v[58:59], s[20:21], v[48:49], v[66:67]
	v_add_f64 v[50:51], v[62:63], -v[70:71]
	v_add_f64 v[56:57], v[52:53], -v[60:61]
	;; [unrolled: 1-line block ×3, first 2 shown]
	v_fmac_f64_e32 v[66:67], s[6:7], v[48:49]
	v_fmac_f64_e32 v[58:59], s[22:23], v[50:51]
	v_add_f64 v[56:57], v[56:57], v[64:65]
	v_fmac_f64_e32 v[66:67], s[18:19], v[50:51]
	v_fmac_f64_e32 v[58:59], s[0:1], v[56:57]
	;; [unrolled: 1-line block ×3, first 2 shown]
	v_add_f64 v[56:57], v[52:53], v[76:77]
	v_fmac_f64_e32 v[44:45], -0.5, v[56:57]
	v_add_f64 v[84:85], v[84:85], v[74:75]
	v_fma_f64 v[74:75], s[6:7], v[50:51], v[44:45]
	v_fmac_f64_e32 v[44:45], s[20:21], v[50:51]
	v_fmac_f64_e32 v[74:75], s[22:23], v[48:49]
	;; [unrolled: 1-line block ×3, first 2 shown]
	v_add_f64 v[48:49], v[46:47], v[54:55]
	v_add_f64 v[48:49], v[48:49], v[62:63]
	;; [unrolled: 1-line block ×3, first 2 shown]
	v_add_f64 v[56:57], v[60:61], -v[52:53]
	v_add_f64 v[64:65], v[68:69], -v[76:77]
	v_add_f64 v[96:97], v[48:49], v[78:79]
	v_add_f64 v[48:49], v[62:63], v[70:71]
	;; [unrolled: 1-line block ×3, first 2 shown]
	v_fma_f64 v[98:99], -0.5, v[48:49], v[46:47]
	v_add_f64 v[48:49], v[52:53], -v[76:77]
	v_fmac_f64_e32 v[74:75], s[0:1], v[56:57]
	v_fmac_f64_e32 v[44:45], s[0:1], v[56:57]
	v_fma_f64 v[76:77], s[6:7], v[48:49], v[98:99]
	v_add_f64 v[50:51], v[60:61], -v[68:69]
	v_add_f64 v[52:53], v[54:55], -v[62:63]
	;; [unrolled: 1-line block ×3, first 2 shown]
	v_fmac_f64_e32 v[98:99], s[20:21], v[48:49]
	v_fmac_f64_e32 v[76:77], s[18:19], v[50:51]
	v_add_f64 v[52:53], v[52:53], v[56:57]
	v_fmac_f64_e32 v[98:99], s[22:23], v[50:51]
	v_fmac_f64_e32 v[76:77], s[0:1], v[52:53]
	;; [unrolled: 1-line block ×3, first 2 shown]
	v_add_f64 v[52:53], v[54:55], v[78:79]
	v_fmac_f64_e32 v[46:47], -0.5, v[52:53]
	v_fma_f64 v[68:69], s[20:21], v[50:51], v[46:47]
	v_add_f64 v[52:53], v[62:63], -v[54:55]
	v_add_f64 v[54:55], v[70:71], -v[78:79]
	v_fmac_f64_e32 v[46:47], s[6:7], v[50:51]
	v_add_f64 v[52:53], v[52:53], v[54:55]
	v_fmac_f64_e32 v[46:47], s[22:23], v[48:49]
	v_fmac_f64_e32 v[68:69], s[18:19], v[48:49]
	;; [unrolled: 1-line block ×3, first 2 shown]
	v_mul_f64 v[50:51], v[44:45], s[0:1]
	v_fmac_f64_e32 v[68:69], s[0:1], v[52:53]
	v_fma_f64 v[100:101], v[46:47], s[20:21], -v[50:51]
	v_mul_f64 v[46:47], v[46:47], s[0:1]
	v_mul_f64 v[78:79], v[68:69], s[20:21]
	;; [unrolled: 1-line block ×3, first 2 shown]
	v_fma_f64 v[106:107], v[44:45], s[6:7], -v[46:47]
	v_mul_f64 v[44:45], v[98:99], s[24:25]
	v_add_f64 v[48:49], v[80:81], v[72:73]
	v_mul_f64 v[70:71], v[58:59], s[24:25]
	v_fmac_f64_e32 v[78:79], s[0:1], v[74:75]
	v_fma_f64 v[102:103], v[98:99], s[22:23], -v[50:51]
	v_mul_f64 v[104:105], v[58:59], s[18:19]
	v_mul_f64 v[74:75], v[74:75], s[6:7]
	v_fma_f64 v[98:99], v[66:67], s[18:19], -v[44:45]
	v_add_f64 v[44:45], v[80:81], -v[72:73]
	v_mul_lo_u16_e32 v80, 10, v188
	v_fmac_f64_e32 v[70:71], s[22:23], v[76:77]
	v_add_f64 v[60:61], v[40:41], v[100:101]
	v_add_f64 v[50:51], v[84:85], v[96:97]
	v_fmac_f64_e32 v[104:105], s[24:25], v[76:77]
	v_fmac_f64_e32 v[74:75], s[0:1], v[68:69]
	v_add_f64 v[40:41], v[40:41], -v[100:101]
	v_lshl_add_u32 v199, v80, 4, v203
	v_add_f64 v[52:53], v[86:87], v[70:71]
	v_add_f64 v[56:57], v[90:91], v[78:79]
	;; [unrolled: 1-line block ×7, first 2 shown]
	v_add_f64 v[68:69], v[86:87], -v[70:71]
	v_add_f64 v[72:73], v[90:91], -v[78:79]
	;; [unrolled: 1-line block ×8, first 2 shown]
	s_barrier
	ds_write_b128 v199, v[48:51]
	ds_write_b128 v199, v[52:55] offset:16
	ds_write_b128 v199, v[56:59] offset:32
	;; [unrolled: 1-line block ×9, first 2 shown]
	v_mul_lo_u16_sdwa v40, v188, s12 dst_sel:DWORD dst_unused:UNUSED_PAD src0_sel:BYTE_0 src1_sel:DWORD
	v_lshrrev_b16_e32 v146, 11, v40
	v_mul_lo_u16_e32 v40, 10, v146
	v_sub_u16_e32 v40, v188, v40
	v_and_b32_e32 v147, 0xff, v40
	s_movk_i32 s12, 0x90
	v_pk_mov_b32 v[40:41], s[14:15], s[14:15] op_sel:[0,1]
	v_mad_u64_u32 v[76:77], s[16:17], v147, s12, v[40:41]
	s_waitcnt lgkmcnt(0)
	s_barrier
	global_load_dwordx4 v[52:55], v[76:77], off
	global_load_dwordx4 v[48:51], v[76:77], off offset:16
	global_load_dwordx4 v[44:47], v[76:77], off offset:32
	;; [unrolled: 1-line block ×8, first 2 shown]
	ds_read_b128 v[76:79], v191
	ds_read_b128 v[80:83], v191 offset:1440
	ds_read_b128 v[84:87], v191 offset:2880
	;; [unrolled: 1-line block ×9, first 2 shown]
	s_waitcnt lgkmcnt(0)
	s_barrier
	s_load_dwordx2 s[16:17], s[4:5], 0x38
	s_waitcnt vmcnt(8)
	v_mul_f64 v[118:119], v[80:81], v[54:55]
	v_mul_f64 v[116:117], v[82:83], v[54:55]
	v_fmac_f64_e32 v[118:119], v[82:83], v[52:53]
	s_waitcnt vmcnt(7)
	v_mul_f64 v[82:83], v[84:85], v[50:51]
	v_fma_f64 v[116:117], v[80:81], v[52:53], -v[116:117]
	v_mul_f64 v[80:81], v[86:87], v[50:51]
	v_fmac_f64_e32 v[82:83], v[86:87], v[48:49]
	s_waitcnt vmcnt(6)
	v_mul_f64 v[86:87], v[88:89], v[46:47]
	v_fma_f64 v[80:81], v[84:85], v[48:49], -v[80:81]
	;; [unrolled: 5-line block ×8, first 2 shown]
	v_mul_f64 v[108:109], v[114:115], v[74:75]
	v_fmac_f64_e32 v[110:111], v[114:115], v[72:73]
	v_add_f64 v[114:115], v[88:89], v[96:97]
	v_fma_f64 v[114:115], -0.5, v[114:115], v[76:77]
	v_add_f64 v[120:121], v[82:83], -v[106:107]
	v_fma_f64 v[122:123], s[20:21], v[120:121], v[114:115]
	v_add_f64 v[124:125], v[90:91], -v[98:99]
	v_add_f64 v[126:127], v[80:81], -v[88:89]
	v_add_f64 v[128:129], v[104:105], -v[96:97]
	v_fmac_f64_e32 v[114:115], s[6:7], v[120:121]
	v_fmac_f64_e32 v[122:123], s[22:23], v[124:125]
	v_add_f64 v[126:127], v[126:127], v[128:129]
	v_fmac_f64_e32 v[114:115], s[18:19], v[124:125]
	v_fmac_f64_e32 v[122:123], s[0:1], v[126:127]
	;; [unrolled: 1-line block ×3, first 2 shown]
	v_add_f64 v[126:127], v[80:81], v[104:105]
	v_fma_f64 v[108:109], v[112:113], v[72:73], -v[108:109]
	v_add_f64 v[112:113], v[76:77], v[80:81]
	v_fmac_f64_e32 v[76:77], -0.5, v[126:127]
	v_add_f64 v[112:113], v[112:113], v[88:89]
	v_fma_f64 v[126:127], s[6:7], v[124:125], v[76:77]
	v_add_f64 v[128:129], v[88:89], -v[80:81]
	v_add_f64 v[130:131], v[96:97], -v[104:105]
	v_fmac_f64_e32 v[76:77], s[20:21], v[124:125]
	v_add_f64 v[124:125], v[90:91], v[98:99]
	v_add_f64 v[112:113], v[112:113], v[96:97]
	v_fmac_f64_e32 v[126:127], s[22:23], v[120:121]
	v_add_f64 v[128:129], v[128:129], v[130:131]
	v_fmac_f64_e32 v[76:77], s[18:19], v[120:121]
	v_fma_f64 v[124:125], -0.5, v[124:125], v[78:79]
	v_add_f64 v[80:81], v[80:81], -v[104:105]
	v_add_f64 v[112:113], v[112:113], v[104:105]
	v_fmac_f64_e32 v[126:127], s[0:1], v[128:129]
	v_fmac_f64_e32 v[76:77], s[0:1], v[128:129]
	v_fma_f64 v[128:129], s[6:7], v[80:81], v[124:125]
	v_add_f64 v[88:89], v[88:89], -v[96:97]
	v_add_f64 v[96:97], v[82:83], -v[90:91]
	;; [unrolled: 1-line block ×3, first 2 shown]
	v_fmac_f64_e32 v[124:125], s[20:21], v[80:81]
	v_fmac_f64_e32 v[128:129], s[18:19], v[88:89]
	v_add_f64 v[96:97], v[96:97], v[104:105]
	v_fmac_f64_e32 v[124:125], s[22:23], v[88:89]
	v_fmac_f64_e32 v[128:129], s[0:1], v[96:97]
	v_fmac_f64_e32 v[124:125], s[0:1], v[96:97]
	v_add_f64 v[96:97], v[82:83], v[106:107]
	v_add_f64 v[120:121], v[78:79], v[82:83]
	v_fmac_f64_e32 v[78:79], -0.5, v[96:97]
	v_fma_f64 v[130:131], s[20:21], v[88:89], v[78:79]
	v_fmac_f64_e32 v[78:79], s[6:7], v[88:89]
	v_fmac_f64_e32 v[130:131], s[18:19], v[80:81]
	;; [unrolled: 1-line block ×3, first 2 shown]
	v_add_f64 v[80:81], v[116:117], v[84:85]
	v_add_f64 v[80:81], v[80:81], v[92:93]
	;; [unrolled: 1-line block ×4, first 2 shown]
	v_add_f64 v[82:83], v[90:91], -v[82:83]
	v_add_f64 v[90:91], v[98:99], -v[106:107]
	v_add_f64 v[104:105], v[80:81], v[108:109]
	v_add_f64 v[80:81], v[92:93], v[100:101]
	;; [unrolled: 1-line block ×4, first 2 shown]
	v_fma_f64 v[98:99], -0.5, v[80:81], v[116:117]
	v_add_f64 v[80:81], v[86:87], -v[110:111]
	v_fmac_f64_e32 v[130:131], s[0:1], v[82:83]
	v_fmac_f64_e32 v[78:79], s[0:1], v[82:83]
	v_fma_f64 v[90:91], s[20:21], v[80:81], v[98:99]
	v_add_f64 v[82:83], v[94:95], -v[102:103]
	v_add_f64 v[88:89], v[84:85], -v[92:93]
	;; [unrolled: 1-line block ×3, first 2 shown]
	v_fmac_f64_e32 v[98:99], s[6:7], v[80:81]
	v_fmac_f64_e32 v[90:91], s[22:23], v[82:83]
	v_add_f64 v[88:89], v[88:89], v[96:97]
	v_fmac_f64_e32 v[98:99], s[18:19], v[82:83]
	v_fmac_f64_e32 v[90:91], s[0:1], v[88:89]
	;; [unrolled: 1-line block ×3, first 2 shown]
	v_add_f64 v[88:89], v[84:85], v[108:109]
	v_fmac_f64_e32 v[116:117], -0.5, v[88:89]
	v_add_f64 v[120:121], v[120:121], v[106:107]
	v_fma_f64 v[106:107], s[6:7], v[82:83], v[116:117]
	v_fmac_f64_e32 v[116:117], s[20:21], v[82:83]
	v_fmac_f64_e32 v[106:107], s[22:23], v[80:81]
	;; [unrolled: 1-line block ×3, first 2 shown]
	v_add_f64 v[80:81], v[118:119], v[86:87]
	v_add_f64 v[80:81], v[80:81], v[94:95]
	;; [unrolled: 1-line block ×3, first 2 shown]
	v_add_f64 v[88:89], v[92:93], -v[84:85]
	v_add_f64 v[96:97], v[100:101], -v[108:109]
	v_add_f64 v[132:133], v[80:81], v[110:111]
	v_add_f64 v[80:81], v[94:95], v[102:103]
	;; [unrolled: 1-line block ×3, first 2 shown]
	v_fma_f64 v[134:135], -0.5, v[80:81], v[118:119]
	v_add_f64 v[80:81], v[84:85], -v[108:109]
	v_fmac_f64_e32 v[106:107], s[0:1], v[88:89]
	v_fmac_f64_e32 v[116:117], s[0:1], v[88:89]
	v_fma_f64 v[108:109], s[6:7], v[80:81], v[134:135]
	v_add_f64 v[82:83], v[92:93], -v[100:101]
	v_add_f64 v[84:85], v[86:87], -v[94:95]
	;; [unrolled: 1-line block ×3, first 2 shown]
	v_fmac_f64_e32 v[134:135], s[20:21], v[80:81]
	v_fmac_f64_e32 v[108:109], s[18:19], v[82:83]
	v_add_f64 v[84:85], v[84:85], v[88:89]
	v_fmac_f64_e32 v[134:135], s[22:23], v[82:83]
	v_fmac_f64_e32 v[108:109], s[0:1], v[84:85]
	;; [unrolled: 1-line block ×3, first 2 shown]
	v_add_f64 v[84:85], v[86:87], v[110:111]
	v_fmac_f64_e32 v[118:119], -0.5, v[84:85]
	v_fma_f64 v[100:101], s[20:21], v[82:83], v[118:119]
	v_add_f64 v[84:85], v[94:95], -v[86:87]
	v_add_f64 v[86:87], v[102:103], -v[110:111]
	v_fmac_f64_e32 v[100:101], s[18:19], v[80:81]
	v_add_f64 v[84:85], v[84:85], v[86:87]
	v_fmac_f64_e32 v[118:119], s[6:7], v[82:83]
	v_fmac_f64_e32 v[100:101], s[0:1], v[84:85]
	v_fmac_f64_e32 v[118:119], s[22:23], v[80:81]
	v_mul_f64 v[144:145], v[106:107], s[6:7]
	v_fmac_f64_e32 v[118:119], s[0:1], v[84:85]
	v_mul_f64 v[110:111], v[100:101], s[20:21]
	v_mul_f64 v[82:83], v[116:117], s[0:1]
	v_fmac_f64_e32 v[144:145], s[0:1], v[100:101]
	v_mul_f64 v[100:101], v[134:135], s[24:25]
	v_add_f64 v[80:81], v[112:113], v[104:105]
	v_fma_f64 v[136:137], v[118:119], s[20:21], -v[82:83]
	v_mul_f64 v[94:95], v[118:119], s[0:1]
	v_fma_f64 v[118:119], v[98:99], s[18:19], -v[100:101]
	v_add_f64 v[100:101], v[112:113], -v[104:105]
	v_mul_u32_u24_e32 v112, 0x64, v146
	v_mul_f64 v[102:103], v[108:109], s[22:23]
	v_fmac_f64_e32 v[110:111], s[0:1], v[106:107]
	v_mul_f64 v[82:83], v[98:99], s[24:25]
	v_mul_f64 v[142:143], v[90:91], s[18:19]
	v_add_u32_e32 v112, v112, v147
	v_fmac_f64_e32 v[102:103], s[24:25], v[90:91]
	v_add_f64 v[88:89], v[126:127], v[110:111]
	v_fma_f64 v[138:139], v[134:135], s[22:23], -v[82:83]
	v_add_f64 v[82:83], v[120:121], v[132:133]
	v_fmac_f64_e32 v[142:143], s[24:25], v[108:109]
	v_fma_f64 v[116:117], v[116:117], s[6:7], -v[94:95]
	v_add_f64 v[108:109], v[126:127], -v[110:111]
	v_add_f64 v[110:111], v[130:131], -v[144:145]
	v_lshl_add_u32 v200, v112, 4, v203
	v_add_f64 v[84:85], v[122:123], v[102:103]
	v_add_f64 v[92:93], v[76:77], v[136:137]
	;; [unrolled: 1-line block ×7, first 2 shown]
	v_add_f64 v[104:105], v[122:123], -v[102:103]
	v_add_f64 v[76:77], v[76:77], -v[136:137]
	;; [unrolled: 1-line block ×7, first 2 shown]
	ds_write_b128 v200, v[80:83]
	ds_write_b128 v200, v[84:87] offset:160
	ds_write_b128 v200, v[88:91] offset:320
	;; [unrolled: 1-line block ×9, first 2 shown]
	s_waitcnt lgkmcnt(0)
	s_barrier
	ds_read_b128 v[116:119], v191
	ds_read_b128 v[112:115], v191 offset:1440
	ds_read_b128 v[148:151], v191 offset:9600
	;; [unrolled: 1-line block ×8, first 2 shown]
	v_cmp_gt_u16_e64 s[0:1], 30, v188
                                        ; implicit-def: $vgpr120_vgpr121
                                        ; implicit-def: $vgpr136_vgpr137
	s_and_saveexec_b64 s[4:5], s[0:1]
	s_cbranch_execz .LBB0_3
; %bb.2:
	ds_read_b128 v[140:143], v191 offset:4320
	ds_read_b128 v[120:123], v191 offset:9120
	;; [unrolled: 1-line block ×3, first 2 shown]
.LBB0_3:
	s_or_b64 exec, exec, s[4:5]
	v_lshlrev_b64 v[76:77], 5, v[188:189]
	v_mov_b32_e32 v101, s15
	v_add_co_u32_e64 v196, s[6:7], s14, v76
	v_addc_co_u32_e64 v197, s[6:7], v101, v77, s[6:7]
	v_add_co_u32_e32 v194, vcc, 0x5a, v188
	v_add_co_u32_e64 v84, s[6:7], -10, v188
	v_addc_co_u32_e64 v195, s[4:5], 0, 0, vcc
	v_add_co_u32_e32 v192, vcc, 0xb4, v188
	v_addc_co_u32_e64 v85, s[6:7], 0, -1, s[6:7]
	v_cmp_gt_u16_e64 s[6:7], 10, v188
	v_lshrrev_b16_e32 v92, 2, v192
	s_mov_b64 s[4:5], vcc
	v_add_co_u32_e32 v204, vcc, 0x10e, v188
	v_cndmask_b32_e64 v157, v85, v195, s[6:7]
	v_cndmask_b32_e64 v156, v84, v194, s[6:7]
	v_mul_u32_u24_e32 v92, 0x147b, v92
	v_lshlrev_b64 v[84:85], 5, v[156:157]
	v_lshrrev_b32_e32 v157, 17, v92
	v_lshrrev_b16_e32 v100, 2, v204
	v_mul_lo_u16_e32 v92, 0x64, v157
	v_mul_u32_u24_e32 v100, 0x147b, v100
	v_add_co_u32_e64 v88, s[6:7], s14, v84
	v_sub_u16_e32 v178, v192, v92
	v_lshrrev_b32_e32 v100, 17, v100
	v_addc_co_u32_e64 v89, s[6:7], v101, v85, s[6:7]
	v_lshlrev_b16_e32 v92, 5, v178
	v_mul_lo_u16_e32 v100, 0x64, v100
	v_add_co_u32_e64 v96, s[6:7], s14, v92
	v_sub_u16_e32 v179, v204, v100
	global_load_dwordx4 v[76:79], v[196:197], off offset:1456
	global_load_dwordx4 v[80:83], v[196:197], off offset:1440
	v_addc_co_u32_e64 v97, s[6:7], 0, v101, s[6:7]
	v_lshlrev_b16_e32 v100, 5, v179
	global_load_dwordx4 v[84:87], v[88:89], off offset:1456
	s_nop 0
	global_load_dwordx4 v[88:91], v[88:89], off offset:1440
	v_add_co_u32_e64 v100, s[6:7], s14, v100
	v_addc_co_u32_e64 v101, s[6:7], 0, v101, s[6:7]
	global_load_dwordx4 v[92:95], v[96:97], off offset:1456
	s_nop 0
	global_load_dwordx4 v[96:99], v[96:97], off offset:1440
	s_nop 0
	;; [unrolled: 2-line block ×3, first 2 shown]
	global_load_dwordx4 v[100:103], v[100:101], off offset:1456
	v_addc_co_u32_e64 v193, s[4:5], 0, 0, s[4:5]
	v_addc_co_u32_e64 v205, s[4:5], 0, 0, vcc
	s_mov_b32 s4, 0xe8584caa
	s_mov_b32 s5, 0x3febb67a
	s_mov_b32 s7, 0xbfebb67a
	s_mov_b32 s6, s4
	s_waitcnt lgkmcnt(0)
	s_barrier
	v_cmp_lt_u16_e32 vcc, 9, v188
	v_lshl_add_u32 v189, v179, 4, v203
	s_waitcnt vmcnt(7)
	v_mul_f64 v[162:163], v[150:151], v[78:79]
	s_waitcnt vmcnt(6)
	v_mul_f64 v[158:159], v[154:155], v[82:83]
	v_mul_f64 v[160:161], v[152:153], v[82:83]
	;; [unrolled: 1-line block ×3, first 2 shown]
	v_fma_f64 v[152:153], v[152:153], v[80:81], -v[158:159]
	v_fmac_f64_e32 v[160:161], v[154:155], v[80:81]
	v_fma_f64 v[148:149], v[148:149], v[76:77], -v[162:163]
	s_waitcnt vmcnt(4)
	v_mul_f64 v[154:155], v[144:145], v[90:91]
	v_mul_f64 v[158:159], v[134:135], v[86:87]
	;; [unrolled: 1-line block ×3, first 2 shown]
	v_fmac_f64_e32 v[164:165], v[150:151], v[76:77]
	v_mul_f64 v[150:151], v[146:147], v[90:91]
	v_fmac_f64_e32 v[154:155], v[146:147], v[88:89]
	v_fma_f64 v[146:147], v[132:133], v[84:85], -v[158:159]
	v_fmac_f64_e32 v[162:163], v[134:135], v[84:85]
	s_waitcnt vmcnt(3)
	v_mul_f64 v[134:135], v[126:127], v[94:95]
	v_mul_f64 v[158:159], v[124:125], v[94:95]
	s_waitcnt vmcnt(1)
	v_mul_f64 v[170:171], v[120:121], v[106:107]
	v_fma_f64 v[168:169], v[124:125], v[92:93], -v[134:135]
	v_fmac_f64_e32 v[158:159], v[126:127], v[92:93]
	v_mul_f64 v[124:125], v[122:123], v[106:107]
	s_waitcnt vmcnt(0)
	v_mul_f64 v[126:127], v[138:139], v[102:103]
	v_fmac_f64_e32 v[170:171], v[122:123], v[104:105]
	v_add_f64 v[122:123], v[152:153], v[148:149]
	v_fma_f64 v[144:145], v[144:145], v[88:89], -v[150:151]
	v_mul_f64 v[132:133], v[130:131], v[98:99]
	v_mul_f64 v[150:151], v[128:129], v[98:99]
	v_fma_f64 v[174:175], v[120:121], v[104:105], -v[124:125]
	v_fma_f64 v[176:177], v[136:137], v[100:101], -v[126:127]
	v_add_f64 v[120:121], v[116:117], v[152:153]
	v_fmac_f64_e32 v[116:117], -0.5, v[122:123]
	v_add_f64 v[122:123], v[160:161], -v[164:165]
	v_add_f64 v[126:127], v[160:161], v[164:165]
	v_fma_f64 v[166:167], v[128:129], v[96:97], -v[132:133]
	v_fmac_f64_e32 v[150:151], v[130:131], v[96:97]
	v_fma_f64 v[124:125], s[4:5], v[122:123], v[116:117]
	v_fmac_f64_e32 v[116:117], s[6:7], v[122:123]
	v_add_f64 v[122:123], v[118:119], v[160:161]
	v_fmac_f64_e32 v[118:119], -0.5, v[126:127]
	v_add_f64 v[128:129], v[152:153], -v[148:149]
	v_add_f64 v[130:131], v[144:145], v[146:147]
	v_mul_f64 v[172:173], v[136:137], v[102:103]
	v_fma_f64 v[126:127], s[6:7], v[128:129], v[118:119]
	v_fmac_f64_e32 v[118:119], s[4:5], v[128:129]
	v_add_f64 v[128:129], v[112:113], v[144:145]
	v_fmac_f64_e32 v[112:113], -0.5, v[130:131]
	v_add_f64 v[130:131], v[154:155], -v[162:163]
	v_add_f64 v[134:135], v[154:155], v[162:163]
	v_fmac_f64_e32 v[172:173], v[138:139], v[100:101]
	v_fma_f64 v[132:133], s[4:5], v[130:131], v[112:113]
	v_fmac_f64_e32 v[112:113], s[6:7], v[130:131]
	v_add_f64 v[130:131], v[114:115], v[154:155]
	v_fmac_f64_e32 v[114:115], -0.5, v[134:135]
	v_add_f64 v[136:137], v[144:145], -v[146:147]
	v_add_f64 v[138:139], v[166:167], v[168:169]
	v_fma_f64 v[134:135], s[6:7], v[136:137], v[114:115]
	v_fmac_f64_e32 v[114:115], s[4:5], v[136:137]
	v_add_f64 v[136:137], v[108:109], v[166:167]
	v_fmac_f64_e32 v[108:109], -0.5, v[138:139]
	v_add_f64 v[138:139], v[150:151], -v[158:159]
	v_add_f64 v[144:145], v[150:151], v[158:159]
	v_fma_f64 v[152:153], s[4:5], v[138:139], v[108:109]
	v_fmac_f64_e32 v[108:109], s[6:7], v[138:139]
	v_add_f64 v[138:139], v[110:111], v[150:151]
	v_fmac_f64_e32 v[110:111], -0.5, v[144:145]
	v_add_f64 v[144:145], v[166:167], -v[168:169]
	v_fma_f64 v[154:155], s[6:7], v[144:145], v[110:111]
	v_fmac_f64_e32 v[110:111], s[4:5], v[144:145]
	v_add_f64 v[144:145], v[140:141], v[174:175]
	v_add_f64 v[120:121], v[120:121], v[148:149]
	;; [unrolled: 1-line block ×6, first 2 shown]
	v_fmac_f64_e32 v[140:141], -0.5, v[144:145]
	v_add_f64 v[146:147], v[170:171], -v[172:173]
	v_fma_f64 v[144:145], s[4:5], v[146:147], v[140:141]
	v_fmac_f64_e32 v[140:141], s[6:7], v[146:147]
	v_add_f64 v[146:147], v[142:143], v[170:171]
	ds_write_b128 v191, v[120:123]
	ds_write_b128 v191, v[124:127] offset:1600
	ds_write_b128 v191, v[116:119] offset:3200
	v_mov_b32_e32 v116, 0x12c
	v_add_f64 v[150:151], v[146:147], v[172:173]
	v_add_f64 v[146:147], v[170:171], v[172:173]
	v_cndmask_b32_e32 v116, 0, v116, vcc
	v_add_f64 v[138:139], v[138:139], v[158:159]
	v_fmac_f64_e32 v[142:143], -0.5, v[146:147]
	v_add_f64 v[158:159], v[174:175], -v[176:177]
	v_add_u32_e32 v116, v156, v116
	v_add_f64 v[130:131], v[130:131], v[162:163]
	v_fma_f64 v[146:147], s[6:7], v[158:159], v[142:143]
	v_fmac_f64_e32 v[142:143], s[4:5], v[158:159]
	s_movk_i32 s4, 0x12c
	v_lshl_add_u32 v201, v116, 4, v203
	ds_write_b128 v201, v[128:131]
	ds_write_b128 v201, v[132:135] offset:1600
	ds_write_b128 v201, v[112:115] offset:3200
	v_mad_legacy_u16 v112, v157, s4, v178
	v_add_f64 v[136:137], v[136:137], v[168:169]
	v_lshl_add_u32 v202, v112, 4, v203
	ds_write_b128 v202, v[136:139]
	ds_write_b128 v202, v[152:155] offset:1600
	ds_write_b128 v202, v[108:111] offset:3200
	s_and_saveexec_b64 s[4:5], s[0:1]
	s_cbranch_execz .LBB0_5
; %bb.4:
	ds_write_b128 v189, v[148:151] offset:9600
	ds_write_b128 v189, v[144:147] offset:11200
	;; [unrolled: 1-line block ×3, first 2 shown]
.LBB0_5:
	s_or_b64 exec, exec, s[4:5]
	s_waitcnt lgkmcnt(0)
	s_barrier
	ds_read_b128 v[160:163], v191
	ds_read_b128 v[156:159], v191 offset:1440
	ds_read_b128 v[180:183], v191 offset:9600
	;; [unrolled: 1-line block ×8, first 2 shown]
	s_and_saveexec_b64 s[4:5], s[0:1]
	s_cbranch_execz .LBB0_7
; %bb.6:
	ds_read_b128 v[148:151], v191 offset:4320
	ds_read_b128 v[144:147], v191 offset:9120
	;; [unrolled: 1-line block ×3, first 2 shown]
.LBB0_7:
	s_or_b64 exec, exec, s[4:5]
	s_movk_i32 s6, 0x1220
	v_add_co_u32_e32 v108, vcc, s6, v196
	v_addc_co_u32_e32 v109, vcc, 0, v197, vcc
	s_movk_i32 s7, 0x1000
	v_add_co_u32_e32 v110, vcc, s7, v196
	v_addc_co_u32_e32 v111, vcc, 0, v197, vcc
	global_load_dwordx4 v[116:119], v[110:111], off offset:544
	global_load_dwordx4 v[120:123], v[108:109], off offset:16
	v_lshlrev_b64 v[108:109], 5, v[194:195]
	v_mov_b32_e32 v112, s15
	v_add_co_u32_e32 v110, vcc, s14, v108
	v_addc_co_u32_e32 v111, vcc, v112, v109, vcc
	v_add_co_u32_e32 v108, vcc, s6, v110
	v_addc_co_u32_e32 v109, vcc, 0, v111, vcc
	;; [unrolled: 2-line block ×3, first 2 shown]
	global_load_dwordx4 v[124:127], v[110:111], off offset:544
	global_load_dwordx4 v[128:131], v[108:109], off offset:16
	v_lshlrev_b64 v[108:109], 5, v[192:193]
	v_add_co_u32_e32 v110, vcc, s14, v108
	v_addc_co_u32_e32 v111, vcc, v112, v109, vcc
	v_add_co_u32_e32 v108, vcc, s6, v110
	v_addc_co_u32_e32 v109, vcc, 0, v111, vcc
	;; [unrolled: 2-line block ×3, first 2 shown]
	s_movk_i32 s4, 0xffe2
	global_load_dwordx4 v[132:135], v[110:111], off offset:544
	global_load_dwordx4 v[136:139], v[108:109], off offset:16
	v_add_co_u32_e32 v108, vcc, s4, v188
	v_addc_co_u32_e64 v109, s[4:5], 0, -1, vcc
	v_cndmask_b32_e64 v109, v109, v205, s[0:1]
	v_cndmask_b32_e64 v108, v108, v204, s[0:1]
	v_lshlrev_b64 v[108:109], 5, v[108:109]
	v_add_co_u32_e32 v113, vcc, s14, v108
	v_addc_co_u32_e32 v114, vcc, v112, v109, vcc
	v_add_co_u32_e32 v108, vcc, s7, v113
	v_addc_co_u32_e32 v109, vcc, 0, v114, vcc
	v_add_co_u32_e32 v112, vcc, s6, v113
	global_load_dwordx4 v[108:111], v[108:109], off offset:544
	v_addc_co_u32_e32 v113, vcc, 0, v114, vcc
	global_load_dwordx4 v[112:115], v[112:113], off offset:16
	s_mov_b32 s4, 0xe8584caa
	s_mov_b32 s5, 0x3febb67a
	s_mov_b32 s7, 0xbfebb67a
	s_mov_b32 s6, s4
	s_waitcnt vmcnt(7) lgkmcnt(4)
	v_mul_f64 v[192:193], v[186:187], v[118:119]
	v_mul_f64 v[194:195], v[184:185], v[118:119]
	s_waitcnt vmcnt(6)
	v_mul_f64 v[196:197], v[182:183], v[122:123]
	v_fma_f64 v[184:185], v[184:185], v[116:117], -v[192:193]
	v_mul_f64 v[204:205], v[180:181], v[122:123]
	v_fma_f64 v[180:181], v[180:181], v[120:121], -v[196:197]
	v_fmac_f64_e32 v[194:195], v[186:187], v[116:117]
	v_fmac_f64_e32 v[204:205], v[182:183], v[120:121]
	s_waitcnt vmcnt(5) lgkmcnt(2)
	v_mul_f64 v[182:183], v[178:179], v[126:127]
	s_waitcnt vmcnt(4)
	v_mul_f64 v[192:193], v[170:171], v[130:131]
	v_mul_f64 v[196:197], v[168:169], v[130:131]
	v_fma_f64 v[192:193], v[168:169], v[128:129], -v[192:193]
	v_fmac_f64_e32 v[196:197], v[170:171], v[128:129]
	v_mul_f64 v[186:187], v[176:177], v[126:127]
	v_fma_f64 v[210:211], v[176:177], v[124:125], -v[182:183]
	v_fmac_f64_e32 v[186:187], v[178:179], v[124:125]
	s_waitcnt vmcnt(3) lgkmcnt(1)
	v_mul_f64 v[206:207], v[174:175], v[134:135]
	s_waitcnt vmcnt(2) lgkmcnt(0)
	v_mul_f64 v[168:169], v[166:167], v[138:139]
	v_fma_f64 v[212:213], v[164:165], v[136:137], -v[168:169]
	v_mul_f64 v[214:215], v[164:165], v[138:139]
	v_fmac_f64_e32 v[214:215], v[166:167], v[136:137]
	v_mul_f64 v[208:209], v[172:173], v[134:135]
	v_fma_f64 v[206:207], v[172:173], v[132:133], -v[206:207]
	v_fmac_f64_e32 v[208:209], v[174:175], v[132:133]
	s_waitcnt vmcnt(1)
	v_mul_f64 v[164:165], v[146:147], v[110:111]
	v_fma_f64 v[164:165], v[144:145], v[108:109], -v[164:165]
	v_mul_f64 v[168:169], v[144:145], v[110:111]
	s_waitcnt vmcnt(0)
	v_mul_f64 v[144:145], v[142:143], v[114:115]
	v_fma_f64 v[166:167], v[140:141], v[112:113], -v[144:145]
	v_mul_f64 v[170:171], v[140:141], v[114:115]
	v_add_f64 v[140:141], v[160:161], v[184:185]
	v_add_f64 v[172:173], v[140:141], v[180:181]
	v_add_f64 v[140:141], v[184:185], v[180:181]
	v_fmac_f64_e32 v[160:161], -0.5, v[140:141]
	v_add_f64 v[140:141], v[194:195], -v[204:205]
	v_fma_f64 v[176:177], s[4:5], v[140:141], v[160:161]
	v_fmac_f64_e32 v[160:161], s[6:7], v[140:141]
	v_add_f64 v[140:141], v[162:163], v[194:195]
	v_add_f64 v[174:175], v[140:141], v[204:205]
	v_add_f64 v[140:141], v[194:195], v[204:205]
	v_fmac_f64_e32 v[162:163], -0.5, v[140:141]
	v_add_f64 v[140:141], v[184:185], -v[180:181]
	v_fma_f64 v[178:179], s[6:7], v[140:141], v[162:163]
	v_fmac_f64_e32 v[162:163], s[4:5], v[140:141]
	;; [unrolled: 7-line block ×5, first 2 shown]
	v_add_f64 v[140:141], v[154:155], v[208:209]
	v_add_f64 v[194:195], v[140:141], v[214:215]
	;; [unrolled: 1-line block ×3, first 2 shown]
	v_fmac_f64_e32 v[154:155], -0.5, v[140:141]
	v_add_f64 v[140:141], v[206:207], -v[212:213]
	v_fmac_f64_e32 v[168:169], v[146:147], v[108:109]
	v_fmac_f64_e32 v[170:171], v[142:143], v[112:113]
	v_fma_f64 v[206:207], s[6:7], v[140:141], v[154:155]
	v_fmac_f64_e32 v[154:155], s[4:5], v[140:141]
	v_add_f64 v[140:141], v[164:165], v[166:167]
	v_fma_f64 v[144:145], -0.5, v[140:141], v[148:149]
	v_add_f64 v[142:143], v[168:169], -v[170:171]
	v_fma_f64 v[140:141], s[4:5], v[142:143], v[144:145]
	v_fmac_f64_e32 v[144:145], s[6:7], v[142:143]
	v_add_f64 v[142:143], v[168:169], v[170:171]
	v_fma_f64 v[146:147], -0.5, v[142:143], v[150:151]
	v_add_f64 v[196:197], v[164:165], -v[166:167]
	v_fma_f64 v[142:143], s[6:7], v[196:197], v[146:147]
	v_fmac_f64_e32 v[146:147], s[4:5], v[196:197]
	ds_write_b128 v191, v[172:175]
	v_lshl_add_u32 v172, v188, 4, v203
	ds_write_b128 v172, v[176:179] offset:4800
	ds_write_b128 v172, v[160:163] offset:9600
	;; [unrolled: 1-line block ×8, first 2 shown]
	s_and_saveexec_b64 s[4:5], s[0:1]
	s_cbranch_execz .LBB0_9
; %bb.8:
	v_add_f64 v[150:151], v[150:151], v[168:169]
	v_add_f64 v[148:149], v[148:149], v[164:165]
	v_add_f64 v[150:151], v[150:151], v[170:171]
	v_add_f64 v[148:149], v[148:149], v[166:167]
	ds_write_b128 v191, v[148:151] offset:4320
	ds_write_b128 v172, v[140:143] offset:9120
	;; [unrolled: 1-line block ×3, first 2 shown]
.LBB0_9:
	s_or_b64 exec, exec, s[4:5]
	v_mov_b32_e32 v148, s13
	v_addc_co_u32_e64 v173, vcc, 0, v148, s[2:3]
	s_movk_i32 s2, 0x3840
	v_add_co_u32_e32 v152, vcc, s2, v198
	v_addc_co_u32_e32 v153, vcc, 0, v173, vcc
	s_movk_i32 s2, 0x3000
	v_add_co_u32_e32 v174, vcc, s2, v198
	s_movk_i32 s2, 0x4000
	v_add_co_u32_e64 v178, s[2:3], s2, v198
	v_addc_co_u32_e64 v179, s[2:3], 0, v173, s[2:3]
	s_movk_i32 s2, 0x5000
	v_add_co_u32_e64 v168, s[2:3], s2, v198
	s_waitcnt lgkmcnt(0)
	s_barrier
	global_load_dwordx4 v[148:151], v[152:153], off offset:1440
	s_nop 0
	global_load_dwordx4 v[152:155], v[152:153], off offset:2880
	v_addc_co_u32_e64 v169, s[2:3], 0, v173, s[2:3]
	v_addc_co_u32_e32 v175, vcc, 0, v173, vcc
	global_load_dwordx4 v[156:159], v[178:179], off offset:3776
	global_load_dwordx4 v[160:163], v[168:169], off offset:1120
	;; [unrolled: 1-line block ×3, first 2 shown]
	s_nop 0
	global_load_dwordx4 v[168:171], v[168:169], off offset:4000
	s_nop 0
	global_load_dwordx4 v[174:177], v[174:175], off offset:2112
	;; [unrolled: 2-line block ×3, first 2 shown]
	s_movk_i32 s2, 0x6000
	v_add_co_u32_e32 v186, vcc, s2, v198
	v_addc_co_u32_e32 v187, vcc, 0, v173, vcc
	global_load_dwordx4 v[182:185], v[186:187], off offset:1344
	global_load_dwordx4 v[192:195], v[186:187], off offset:2784
	ds_read_b128 v[204:207], v191
	ds_read_b128 v[208:211], v191 offset:1440
	ds_read_b128 v[212:215], v191 offset:2880
	;; [unrolled: 1-line block ×7, first 2 shown]
	s_mov_b32 s12, 0x134454ff
	s_mov_b32 s13, 0xbfee6f0e
	;; [unrolled: 1-line block ×16, first 2 shown]
	s_waitcnt vmcnt(9) lgkmcnt(6)
	v_mul_f64 v[186:187], v[210:211], v[150:151]
	v_mul_f64 v[238:239], v[208:209], v[150:151]
	s_waitcnt vmcnt(8) lgkmcnt(5)
	v_mul_f64 v[196:197], v[214:215], v[154:155]
	v_mul_f64 v[150:151], v[212:213], v[154:155]
	;; [unrolled: 3-line block ×5, first 2 shown]
	s_waitcnt vmcnt(3)
	v_mul_f64 v[248:249], v[206:207], v[176:177]
	v_mul_f64 v[166:167], v[204:205], v[176:177]
	v_fma_f64 v[236:237], v[208:209], v[148:149], -v[186:187]
	v_fmac_f64_e32 v[238:239], v[210:211], v[148:149]
	v_fma_f64 v[148:149], v[212:213], v[152:153], -v[196:197]
	v_fmac_f64_e32 v[150:151], v[214:215], v[152:153]
	s_waitcnt vmcnt(2)
	v_mul_f64 v[186:187], v[218:219], v[180:181]
	v_mul_f64 v[176:177], v[216:217], v[180:181]
	v_fma_f64 v[152:153], v[220:221], v[156:157], -v[240:241]
	v_fmac_f64_e32 v[154:155], v[222:223], v[156:157]
	s_waitcnt lgkmcnt(0)
	v_mul_f64 v[246:247], v[234:235], v[170:171]
	v_fma_f64 v[156:157], v[224:225], v[160:161], -v[242:243]
	v_fmac_f64_e32 v[158:159], v[226:227], v[160:161]
	v_fma_f64 v[160:161], v[228:229], v[164:165], -v[244:245]
	v_fmac_f64_e32 v[162:163], v[230:231], v[164:165]
	;; [unrolled: 2-line block ×3, first 2 shown]
	ds_write_b128 v191, v[236:239] offset:1440
	ds_write_b128 v191, v[148:151] offset:2880
	v_fma_f64 v[174:175], v[216:217], v[178:179], -v[186:187]
	v_fmac_f64_e32 v[176:177], v[218:219], v[178:179]
	ds_write_b128 v191, v[152:155] offset:5760
	ds_write_b128 v191, v[156:159] offset:7200
	;; [unrolled: 1-line block ×3, first 2 shown]
	ds_write_b128 v191, v[164:167]
	ds_write_b128 v191, v[174:177] offset:4320
	v_mul_f64 v[150:151], v[232:233], v[170:171]
	v_fma_f64 v[148:149], v[232:233], v[168:169], -v[246:247]
	ds_read_b128 v[152:155], v191 offset:11520
	v_fmac_f64_e32 v[150:151], v[234:235], v[168:169]
	ds_write_b128 v191, v[148:151] offset:10080
	ds_read_b128 v[148:151], v191 offset:12960
	s_waitcnt vmcnt(1) lgkmcnt(2)
	v_mul_f64 v[156:157], v[154:155], v[184:185]
	v_mul_f64 v[158:159], v[152:153], v[184:185]
	v_fma_f64 v[156:157], v[152:153], v[182:183], -v[156:157]
	v_fmac_f64_e32 v[158:159], v[154:155], v[182:183]
	s_waitcnt vmcnt(0) lgkmcnt(0)
	v_mul_f64 v[152:153], v[150:151], v[194:195]
	v_mul_f64 v[154:155], v[148:149], v[194:195]
	v_fma_f64 v[152:153], v[148:149], v[192:193], -v[152:153]
	v_fmac_f64_e32 v[154:155], v[150:151], v[192:193]
	ds_write_b128 v191, v[156:159] offset:11520
	ds_write_b128 v191, v[152:155] offset:12960
	s_waitcnt lgkmcnt(0)
	s_barrier
	ds_read_b128 v[148:151], v191
	ds_read_b128 v[152:155], v191 offset:1440
	ds_read_b128 v[156:159], v191 offset:2880
	;; [unrolled: 1-line block ×9, first 2 shown]
	s_waitcnt lgkmcnt(5)
	v_add_f64 v[210:211], v[156:157], -v[164:165]
	s_waitcnt lgkmcnt(3)
	v_add_f64 v[196:197], v[164:165], v[174:175]
	v_fma_f64 v[196:197], -0.5, v[196:197], v[148:149]
	s_waitcnt lgkmcnt(1)
	v_add_f64 v[204:205], v[158:159], -v[184:185]
	v_fma_f64 v[206:207], s[12:13], v[204:205], v[196:197]
	v_add_f64 v[208:209], v[166:167], -v[176:177]
	v_add_f64 v[212:213], v[182:183], -v[174:175]
	v_fmac_f64_e32 v[196:197], s[4:5], v[204:205]
	v_fmac_f64_e32 v[206:207], s[14:15], v[208:209]
	v_add_f64 v[210:211], v[210:211], v[212:213]
	v_fmac_f64_e32 v[196:197], s[2:3], v[208:209]
	v_fmac_f64_e32 v[206:207], s[6:7], v[210:211]
	v_fmac_f64_e32 v[196:197], s[6:7], v[210:211]
	v_add_f64 v[210:211], v[156:157], v[182:183]
	v_add_f64 v[186:187], v[148:149], v[156:157]
	v_fmac_f64_e32 v[148:149], -0.5, v[210:211]
	v_add_f64 v[186:187], v[186:187], v[164:165]
	v_fma_f64 v[210:211], s[4:5], v[208:209], v[148:149]
	v_add_f64 v[212:213], v[164:165], -v[156:157]
	v_add_f64 v[214:215], v[174:175], -v[182:183]
	v_fmac_f64_e32 v[148:149], s[12:13], v[208:209]
	v_add_f64 v[208:209], v[166:167], v[176:177]
	v_add_f64 v[186:187], v[186:187], v[174:175]
	v_fmac_f64_e32 v[210:211], s[14:15], v[204:205]
	v_add_f64 v[212:213], v[212:213], v[214:215]
	v_fmac_f64_e32 v[148:149], s[2:3], v[204:205]
	v_fma_f64 v[208:209], -0.5, v[208:209], v[150:151]
	v_add_f64 v[156:157], v[156:157], -v[182:183]
	v_add_f64 v[186:187], v[186:187], v[182:183]
	v_fmac_f64_e32 v[210:211], s[6:7], v[212:213]
	v_fmac_f64_e32 v[148:149], s[6:7], v[212:213]
	v_fma_f64 v[212:213], s[4:5], v[156:157], v[208:209]
	v_add_f64 v[164:165], v[164:165], -v[174:175]
	v_add_f64 v[174:175], v[158:159], -v[166:167]
	v_add_f64 v[182:183], v[184:185], -v[176:177]
	v_fmac_f64_e32 v[208:209], s[12:13], v[156:157]
	v_fmac_f64_e32 v[212:213], s[2:3], v[164:165]
	v_add_f64 v[174:175], v[174:175], v[182:183]
	v_fmac_f64_e32 v[208:209], s[14:15], v[164:165]
	v_fmac_f64_e32 v[212:213], s[6:7], v[174:175]
	v_fmac_f64_e32 v[208:209], s[6:7], v[174:175]
	v_add_f64 v[174:175], v[158:159], v[184:185]
	v_add_f64 v[204:205], v[150:151], v[158:159]
	v_fmac_f64_e32 v[150:151], -0.5, v[174:175]
	v_fma_f64 v[214:215], s[12:13], v[164:165], v[150:151]
	v_fmac_f64_e32 v[150:151], s[4:5], v[164:165]
	v_fmac_f64_e32 v[214:215], s[2:3], v[156:157]
	v_fmac_f64_e32 v[150:151], s[14:15], v[156:157]
	v_add_f64 v[156:157], v[152:153], v[160:161]
	v_add_f64 v[156:157], v[156:157], v[168:169]
	;; [unrolled: 1-line block ×4, first 2 shown]
	v_add_f64 v[158:159], v[166:167], -v[158:159]
	v_add_f64 v[166:167], v[176:177], -v[184:185]
	s_waitcnt lgkmcnt(0)
	v_add_f64 v[182:183], v[156:157], v[192:193]
	v_add_f64 v[156:157], v[168:169], v[178:179]
	;; [unrolled: 1-line block ×4, first 2 shown]
	v_fma_f64 v[176:177], -0.5, v[156:157], v[152:153]
	v_add_f64 v[156:157], v[162:163], -v[194:195]
	v_fmac_f64_e32 v[214:215], s[6:7], v[158:159]
	v_fmac_f64_e32 v[150:151], s[6:7], v[158:159]
	v_fma_f64 v[166:167], s[12:13], v[156:157], v[176:177]
	v_add_f64 v[158:159], v[170:171], -v[180:181]
	v_add_f64 v[164:165], v[160:161], -v[168:169]
	v_add_f64 v[174:175], v[192:193], -v[178:179]
	v_fmac_f64_e32 v[176:177], s[4:5], v[156:157]
	v_fmac_f64_e32 v[166:167], s[14:15], v[158:159]
	v_add_f64 v[164:165], v[164:165], v[174:175]
	v_fmac_f64_e32 v[176:177], s[2:3], v[158:159]
	v_fmac_f64_e32 v[166:167], s[6:7], v[164:165]
	;; [unrolled: 1-line block ×3, first 2 shown]
	v_add_f64 v[164:165], v[160:161], v[192:193]
	v_fmac_f64_e32 v[152:153], -0.5, v[164:165]
	v_add_f64 v[204:205], v[204:205], v[184:185]
	v_fma_f64 v[184:185], s[4:5], v[158:159], v[152:153]
	v_fmac_f64_e32 v[152:153], s[12:13], v[158:159]
	v_fmac_f64_e32 v[184:185], s[14:15], v[156:157]
	;; [unrolled: 1-line block ×3, first 2 shown]
	v_add_f64 v[156:157], v[154:155], v[162:163]
	v_add_f64 v[156:157], v[156:157], v[170:171]
	;; [unrolled: 1-line block ×3, first 2 shown]
	v_add_f64 v[164:165], v[168:169], -v[160:161]
	v_add_f64 v[174:175], v[178:179], -v[192:193]
	v_add_f64 v[216:217], v[156:157], v[194:195]
	v_add_f64 v[156:157], v[170:171], v[180:181]
	;; [unrolled: 1-line block ×3, first 2 shown]
	v_fma_f64 v[218:219], -0.5, v[156:157], v[154:155]
	v_add_f64 v[156:157], v[160:161], -v[192:193]
	v_fmac_f64_e32 v[184:185], s[6:7], v[164:165]
	v_fmac_f64_e32 v[152:153], s[6:7], v[164:165]
	v_fma_f64 v[192:193], s[4:5], v[156:157], v[218:219]
	v_add_f64 v[158:159], v[168:169], -v[178:179]
	v_add_f64 v[160:161], v[162:163], -v[170:171]
	;; [unrolled: 1-line block ×3, first 2 shown]
	v_fmac_f64_e32 v[218:219], s[12:13], v[156:157]
	v_fmac_f64_e32 v[192:193], s[2:3], v[158:159]
	v_add_f64 v[160:161], v[160:161], v[164:165]
	v_fmac_f64_e32 v[218:219], s[14:15], v[158:159]
	v_fmac_f64_e32 v[192:193], s[6:7], v[160:161]
	;; [unrolled: 1-line block ×3, first 2 shown]
	v_add_f64 v[160:161], v[162:163], v[194:195]
	v_fmac_f64_e32 v[154:155], -0.5, v[160:161]
	v_fma_f64 v[178:179], s[12:13], v[158:159], v[154:155]
	v_add_f64 v[160:161], v[170:171], -v[162:163]
	v_add_f64 v[162:163], v[180:181], -v[194:195]
	v_fmac_f64_e32 v[154:155], s[4:5], v[158:159]
	v_fmac_f64_e32 v[178:179], s[2:3], v[156:157]
	v_add_f64 v[160:161], v[160:161], v[162:163]
	v_fmac_f64_e32 v[154:155], s[14:15], v[156:157]
	v_fmac_f64_e32 v[178:179], s[6:7], v[160:161]
	;; [unrolled: 1-line block ×3, first 2 shown]
	v_mul_f64 v[180:181], v[192:193], s[14:15]
	v_mul_f64 v[194:195], v[178:179], s[12:13]
	;; [unrolled: 1-line block ×8, first 2 shown]
	v_fmac_f64_e32 v[180:181], s[18:19], v[166:167]
	v_fmac_f64_e32 v[194:195], s[6:7], v[184:185]
	v_fmac_f64_e32 v[220:221], s[20:21], v[152:153]
	v_fmac_f64_e32 v[222:223], s[22:23], v[176:177]
	v_fmac_f64_e32 v[224:225], s[18:19], v[192:193]
	v_fmac_f64_e32 v[226:227], s[4:5], v[184:185]
	v_fmac_f64_e32 v[228:229], s[4:5], v[152:153]
	v_fmac_f64_e32 v[218:219], s[2:3], v[176:177]
	v_add_f64 v[156:157], v[186:187], v[182:183]
	v_add_f64 v[160:161], v[206:207], v[180:181]
	;; [unrolled: 1-line block ×10, first 2 shown]
	v_add_f64 v[152:153], v[186:187], -v[182:183]
	v_add_f64 v[178:179], v[206:207], -v[180:181]
	;; [unrolled: 1-line block ×10, first 2 shown]
	s_barrier
	ds_write_b128 v199, v[156:159]
	ds_write_b128 v199, v[160:163] offset:16
	ds_write_b128 v199, v[164:167] offset:32
	;; [unrolled: 1-line block ×9, first 2 shown]
	s_waitcnt lgkmcnt(0)
	s_barrier
	ds_read_b128 v[148:151], v191
	ds_read_b128 v[152:155], v191 offset:1440
	ds_read_b128 v[156:159], v191 offset:2880
	;; [unrolled: 1-line block ×9, first 2 shown]
	s_waitcnt lgkmcnt(8)
	v_mul_f64 v[186:187], v[54:55], v[154:155]
	v_mul_f64 v[54:55], v[54:55], v[152:153]
	v_fmac_f64_e32 v[186:187], v[52:53], v[152:153]
	v_fma_f64 v[152:153], v[52:53], v[154:155], -v[54:55]
	s_waitcnt lgkmcnt(7)
	v_mul_f64 v[52:53], v[50:51], v[158:159]
	v_mul_f64 v[50:51], v[50:51], v[156:157]
	v_fmac_f64_e32 v[52:53], v[48:49], v[156:157]
	v_fma_f64 v[48:49], v[48:49], v[158:159], -v[50:51]
	;; [unrolled: 5-line block ×8, first 2 shown]
	s_waitcnt lgkmcnt(0)
	v_mul_f64 v[58:59], v[74:75], v[194:195]
	v_mul_f64 v[70:71], v[74:75], v[192:193]
	v_add_f64 v[74:75], v[46:47], v[68:69]
	v_fma_f64 v[74:75], -0.5, v[74:75], v[148:149]
	v_add_f64 v[154:155], v[48:49], -v[56:57]
	v_fma_f64 v[156:157], s[12:13], v[154:155], v[74:75]
	v_add_f64 v[158:159], v[40:41], -v[64:65]
	v_add_f64 v[160:161], v[52:53], -v[46:47]
	;; [unrolled: 1-line block ×3, first 2 shown]
	v_fmac_f64_e32 v[74:75], s[4:5], v[154:155]
	v_fmac_f64_e32 v[156:157], s[14:15], v[158:159]
	v_add_f64 v[160:161], v[160:161], v[162:163]
	v_fmac_f64_e32 v[74:75], s[2:3], v[158:159]
	v_fmac_f64_e32 v[156:157], s[6:7], v[160:161]
	;; [unrolled: 1-line block ×3, first 2 shown]
	v_add_f64 v[160:161], v[52:53], v[62:63]
	v_fmac_f64_e32 v[58:59], v[72:73], v[192:193]
	v_fma_f64 v[70:71], v[72:73], v[194:195], -v[70:71]
	v_add_f64 v[72:73], v[148:149], v[52:53]
	v_fmac_f64_e32 v[148:149], -0.5, v[160:161]
	v_add_f64 v[72:73], v[72:73], v[46:47]
	v_fma_f64 v[160:161], s[4:5], v[158:159], v[148:149]
	v_add_f64 v[162:163], v[46:47], -v[52:53]
	v_add_f64 v[164:165], v[68:69], -v[62:63]
	v_fmac_f64_e32 v[148:149], s[12:13], v[158:159]
	v_add_f64 v[158:159], v[40:41], v[64:65]
	v_add_f64 v[72:73], v[72:73], v[68:69]
	v_fmac_f64_e32 v[160:161], s[14:15], v[154:155]
	v_add_f64 v[162:163], v[162:163], v[164:165]
	v_fmac_f64_e32 v[148:149], s[2:3], v[154:155]
	v_fma_f64 v[158:159], -0.5, v[158:159], v[150:151]
	v_add_f64 v[52:53], v[52:53], -v[62:63]
	v_add_f64 v[72:73], v[72:73], v[62:63]
	v_fmac_f64_e32 v[160:161], s[6:7], v[162:163]
	v_fmac_f64_e32 v[148:149], s[6:7], v[162:163]
	v_fma_f64 v[162:163], s[4:5], v[52:53], v[158:159]
	v_add_f64 v[46:47], v[46:47], -v[68:69]
	v_add_f64 v[62:63], v[48:49], -v[40:41]
	;; [unrolled: 1-line block ×3, first 2 shown]
	v_fmac_f64_e32 v[158:159], s[12:13], v[52:53]
	v_fmac_f64_e32 v[162:163], s[2:3], v[46:47]
	v_add_f64 v[62:63], v[62:63], v[68:69]
	v_fmac_f64_e32 v[158:159], s[14:15], v[46:47]
	v_fmac_f64_e32 v[162:163], s[6:7], v[62:63]
	v_fmac_f64_e32 v[158:159], s[6:7], v[62:63]
	v_add_f64 v[62:63], v[48:49], v[56:57]
	v_add_f64 v[154:155], v[150:151], v[48:49]
	v_fmac_f64_e32 v[150:151], -0.5, v[62:63]
	v_add_f64 v[154:155], v[154:155], v[40:41]
	v_fma_f64 v[164:165], s[12:13], v[46:47], v[150:151]
	v_fmac_f64_e32 v[150:151], s[4:5], v[46:47]
	v_add_f64 v[46:47], v[42:43], v[66:67]
	v_add_f64 v[154:155], v[154:155], v[64:65]
	v_add_f64 v[40:41], v[40:41], -v[48:49]
	v_add_f64 v[48:49], v[64:65], -v[56:57]
	v_fma_f64 v[62:63], -0.5, v[46:47], v[186:187]
	v_add_f64 v[46:47], v[44:45], -v[70:71]
	v_add_f64 v[154:155], v[154:155], v[56:57]
	v_fmac_f64_e32 v[164:165], s[2:3], v[52:53]
	v_add_f64 v[40:41], v[40:41], v[48:49]
	v_fmac_f64_e32 v[150:151], s[14:15], v[52:53]
	v_fma_f64 v[64:65], s[12:13], v[46:47], v[62:63]
	v_add_f64 v[48:49], v[54:55], -v[60:61]
	v_add_f64 v[52:53], v[50:51], -v[42:43]
	;; [unrolled: 1-line block ×3, first 2 shown]
	v_fmac_f64_e32 v[62:63], s[4:5], v[46:47]
	v_fmac_f64_e32 v[64:65], s[14:15], v[48:49]
	v_add_f64 v[52:53], v[52:53], v[56:57]
	v_fmac_f64_e32 v[62:63], s[2:3], v[48:49]
	v_fmac_f64_e32 v[64:65], s[6:7], v[52:53]
	;; [unrolled: 1-line block ×3, first 2 shown]
	v_add_f64 v[52:53], v[50:51], v[58:59]
	v_fmac_f64_e32 v[164:165], s[6:7], v[40:41]
	v_fmac_f64_e32 v[150:151], s[6:7], v[40:41]
	v_add_f64 v[40:41], v[186:187], v[50:51]
	v_fmac_f64_e32 v[186:187], -0.5, v[52:53]
	v_fma_f64 v[68:69], s[4:5], v[48:49], v[186:187]
	v_fmac_f64_e32 v[186:187], s[12:13], v[48:49]
	v_fmac_f64_e32 v[68:69], s[14:15], v[46:47]
	;; [unrolled: 1-line block ×3, first 2 shown]
	v_add_f64 v[46:47], v[152:153], v[44:45]
	v_add_f64 v[46:47], v[46:47], v[54:55]
	;; [unrolled: 1-line block ×3, first 2 shown]
	v_add_f64 v[52:53], v[42:43], -v[50:51]
	v_add_f64 v[56:57], v[66:67], -v[58:59]
	v_add_f64 v[166:167], v[46:47], v[70:71]
	v_add_f64 v[46:47], v[54:55], v[60:61]
	;; [unrolled: 1-line block ×3, first 2 shown]
	v_fma_f64 v[168:169], -0.5, v[46:47], v[152:153]
	v_add_f64 v[46:47], v[50:51], -v[58:59]
	v_add_f64 v[40:41], v[40:41], v[42:43]
	v_fmac_f64_e32 v[68:69], s[6:7], v[52:53]
	v_fmac_f64_e32 v[186:187], s[6:7], v[52:53]
	v_fma_f64 v[50:51], s[4:5], v[46:47], v[168:169]
	v_add_f64 v[42:43], v[42:43], -v[66:67]
	v_add_f64 v[48:49], v[44:45], -v[54:55]
	;; [unrolled: 1-line block ×3, first 2 shown]
	v_fmac_f64_e32 v[168:169], s[12:13], v[46:47]
	v_fmac_f64_e32 v[50:51], s[2:3], v[42:43]
	v_add_f64 v[48:49], v[48:49], v[52:53]
	v_fmac_f64_e32 v[168:169], s[14:15], v[42:43]
	v_fmac_f64_e32 v[50:51], s[6:7], v[48:49]
	;; [unrolled: 1-line block ×3, first 2 shown]
	v_add_f64 v[48:49], v[44:45], v[70:71]
	v_add_f64 v[40:41], v[40:41], v[66:67]
	v_fmac_f64_e32 v[152:153], -0.5, v[48:49]
	v_add_f64 v[40:41], v[40:41], v[58:59]
	v_fma_f64 v[58:59], s[12:13], v[42:43], v[152:153]
	v_add_f64 v[44:45], v[54:55], -v[44:45]
	v_add_f64 v[48:49], v[60:61], -v[70:71]
	v_fmac_f64_e32 v[152:153], s[4:5], v[42:43]
	v_fmac_f64_e32 v[58:59], s[2:3], v[46:47]
	v_add_f64 v[44:45], v[44:45], v[48:49]
	v_fmac_f64_e32 v[152:153], s[14:15], v[46:47]
	v_fmac_f64_e32 v[58:59], s[6:7], v[44:45]
	;; [unrolled: 1-line block ×3, first 2 shown]
	v_mul_f64 v[42:43], v[50:51], s[14:15]
	v_mul_f64 v[66:67], v[58:59], s[12:13]
	;; [unrolled: 1-line block ×8, first 2 shown]
	v_fmac_f64_e32 v[42:43], s[18:19], v[64:65]
	v_fmac_f64_e32 v[66:67], s[6:7], v[68:69]
	;; [unrolled: 1-line block ×8, first 2 shown]
	v_add_f64 v[44:45], v[72:73], v[40:41]
	v_add_f64 v[48:49], v[156:157], v[42:43]
	;; [unrolled: 1-line block ×10, first 2 shown]
	v_add_f64 v[64:65], v[72:73], -v[40:41]
	v_add_f64 v[68:69], v[156:157], -v[42:43]
	v_add_f64 v[72:73], v[160:161], -v[66:67]
	v_add_f64 v[148:149], v[148:149], -v[70:71]
	v_add_f64 v[40:41], v[74:75], -v[170:171]
	v_add_f64 v[66:67], v[154:155], -v[166:167]
	v_add_f64 v[70:71], v[162:163], -v[174:175]
	v_add_f64 v[74:75], v[164:165], -v[176:177]
	v_add_f64 v[150:151], v[150:151], -v[152:153]
	v_add_f64 v[42:43], v[158:159], -v[168:169]
	s_barrier
	ds_write_b128 v200, v[44:47]
	ds_write_b128 v200, v[48:51] offset:160
	ds_write_b128 v200, v[52:55] offset:320
	;; [unrolled: 1-line block ×9, first 2 shown]
	s_waitcnt lgkmcnt(0)
	s_barrier
	ds_read_b128 v[60:63], v191
	ds_read_b128 v[56:59], v191 offset:1440
	ds_read_b128 v[68:71], v191 offset:9600
	ds_read_b128 v[64:67], v191 offset:11040
	ds_read_b128 v[148:151], v191 offset:4800
	ds_read_b128 v[52:55], v191 offset:2880
	ds_read_b128 v[72:75], v191 offset:6240
	ds_read_b128 v[48:51], v191 offset:7680
	ds_read_b128 v[44:47], v191 offset:12480
	s_and_saveexec_b64 s[2:3], s[0:1]
	s_cbranch_execz .LBB0_11
; %bb.10:
	ds_read_b128 v[40:43], v191 offset:4320
	ds_read_b128 v[140:143], v191 offset:9120
	;; [unrolled: 1-line block ×3, first 2 shown]
.LBB0_11:
	s_or_b64 exec, exec, s[2:3]
	s_waitcnt lgkmcnt(4)
	v_mul_f64 v[152:153], v[82:83], v[150:151]
	v_mul_f64 v[82:83], v[82:83], v[148:149]
	v_fmac_f64_e32 v[152:153], v[80:81], v[148:149]
	v_fma_f64 v[80:81], v[80:81], v[150:151], -v[82:83]
	v_mul_f64 v[82:83], v[78:79], v[70:71]
	v_fmac_f64_e32 v[82:83], v[76:77], v[68:69]
	v_mul_f64 v[68:69], v[78:79], v[68:69]
	v_fma_f64 v[70:71], v[76:77], v[70:71], -v[68:69]
	s_waitcnt lgkmcnt(2)
	v_mul_f64 v[78:79], v[90:91], v[74:75]
	v_mul_f64 v[68:69], v[90:91], v[72:73]
	;; [unrolled: 1-line block ×3, first 2 shown]
	v_fmac_f64_e32 v[90:91], v[84:85], v[64:65]
	v_mul_f64 v[64:65], v[86:87], v[64:65]
	s_waitcnt lgkmcnt(1)
	v_mul_f64 v[86:87], v[98:99], v[50:51]
	v_fmac_f64_e32 v[86:87], v[96:97], v[48:49]
	v_mul_f64 v[48:49], v[98:99], v[48:49]
	v_fma_f64 v[48:49], v[96:97], v[50:51], -v[48:49]
	s_waitcnt lgkmcnt(0)
	v_mul_f64 v[50:51], v[94:95], v[46:47]
	v_fmac_f64_e32 v[50:51], v[92:93], v[44:45]
	v_mul_f64 v[44:45], v[94:95], v[44:45]
	v_fma_f64 v[44:45], v[92:93], v[46:47], -v[44:45]
	v_mul_f64 v[46:47], v[106:107], v[140:141]
	v_fma_f64 v[94:95], v[104:105], v[142:143], -v[46:47]
	v_mul_f64 v[46:47], v[102:103], v[144:145]
	v_fma_f64 v[98:99], v[100:101], v[146:147], -v[46:47]
	v_add_f64 v[46:47], v[60:61], v[152:153]
	v_fma_f64 v[84:85], v[84:85], v[66:67], -v[64:65]
	v_add_f64 v[64:65], v[46:47], v[82:83]
	v_add_f64 v[46:47], v[152:153], v[82:83]
	s_mov_b32 s2, 0xe8584caa
	v_fmac_f64_e32 v[60:61], -0.5, v[46:47]
	v_add_f64 v[46:47], v[80:81], -v[70:71]
	s_mov_b32 s3, 0xbfebb67a
	s_mov_b32 s5, 0x3febb67a
	;; [unrolled: 1-line block ×3, first 2 shown]
	v_fmac_f64_e32 v[78:79], v[88:89], v[72:73]
	v_fma_f64 v[88:89], v[88:89], v[74:75], -v[68:69]
	v_fma_f64 v[68:69], s[2:3], v[46:47], v[60:61]
	v_fmac_f64_e32 v[60:61], s[4:5], v[46:47]
	v_add_f64 v[46:47], v[62:63], v[80:81]
	v_add_f64 v[66:67], v[46:47], v[70:71]
	v_add_f64 v[46:47], v[80:81], v[70:71]
	v_fmac_f64_e32 v[62:63], -0.5, v[46:47]
	v_add_f64 v[46:47], v[152:153], -v[82:83]
	v_fma_f64 v[70:71], s[4:5], v[46:47], v[62:63]
	v_fmac_f64_e32 v[62:63], s[2:3], v[46:47]
	v_add_f64 v[46:47], v[56:57], v[78:79]
	v_add_f64 v[72:73], v[46:47], v[90:91]
	v_add_f64 v[46:47], v[78:79], v[90:91]
	v_fmac_f64_e32 v[56:57], -0.5, v[46:47]
	v_add_f64 v[46:47], v[88:89], -v[84:85]
	;; [unrolled: 7-line block ×4, first 2 shown]
	v_mul_f64 v[92:93], v[106:107], v[142:143]
	v_mul_f64 v[96:97], v[102:103], v[146:147]
	v_fma_f64 v[84:85], s[2:3], v[46:47], v[52:53]
	v_fmac_f64_e32 v[52:53], s[4:5], v[46:47]
	v_add_f64 v[46:47], v[54:55], v[48:49]
	v_fmac_f64_e32 v[92:93], v[104:105], v[140:141]
	v_fmac_f64_e32 v[96:97], v[100:101], v[144:145]
	v_add_f64 v[82:83], v[46:47], v[44:45]
	v_add_f64 v[44:45], v[48:49], v[44:45]
	v_fmac_f64_e32 v[54:55], -0.5, v[44:45]
	v_add_f64 v[44:45], v[86:87], -v[50:51]
	v_add_f64 v[46:47], v[92:93], v[96:97]
	v_fma_f64 v[86:87], s[4:5], v[44:45], v[54:55]
	v_fmac_f64_e32 v[54:55], s[2:3], v[44:45]
	v_add_f64 v[44:45], v[40:41], v[92:93]
	v_fmac_f64_e32 v[40:41], -0.5, v[46:47]
	v_add_f64 v[46:47], v[94:95], -v[98:99]
	v_add_f64 v[50:51], v[94:95], v[98:99]
	v_fma_f64 v[48:49], s[2:3], v[46:47], v[40:41]
	v_fmac_f64_e32 v[40:41], s[4:5], v[46:47]
	v_add_f64 v[46:47], v[42:43], v[94:95]
	v_fmac_f64_e32 v[42:43], -0.5, v[50:51]
	v_add_f64 v[88:89], v[92:93], -v[96:97]
	v_add_f64 v[44:45], v[44:45], v[96:97]
	v_add_f64 v[46:47], v[46:47], v[98:99]
	v_fma_f64 v[50:51], s[4:5], v[88:89], v[42:43]
	v_fmac_f64_e32 v[42:43], s[2:3], v[88:89]
	s_barrier
	ds_write_b128 v191, v[64:67]
	ds_write_b128 v191, v[68:71] offset:1600
	ds_write_b128 v191, v[60:63] offset:3200
	ds_write_b128 v201, v[72:75]
	ds_write_b128 v201, v[76:79] offset:1600
	ds_write_b128 v201, v[56:59] offset:3200
	;; [unrolled: 3-line block ×3, first 2 shown]
	s_and_saveexec_b64 s[2:3], s[0:1]
	s_cbranch_execz .LBB0_13
; %bb.12:
	ds_write_b128 v189, v[44:47] offset:9600
	ds_write_b128 v189, v[48:51] offset:11200
	;; [unrolled: 1-line block ×3, first 2 shown]
.LBB0_13:
	s_or_b64 exec, exec, s[2:3]
	s_waitcnt lgkmcnt(0)
	s_barrier
	ds_read_b128 v[60:63], v191
	ds_read_b128 v[56:59], v191 offset:1440
	ds_read_b128 v[76:79], v191 offset:9600
	;; [unrolled: 1-line block ×8, first 2 shown]
	v_add_u32_e32 v88, 0xb40, v191
	s_and_saveexec_b64 s[2:3], s[0:1]
	s_cbranch_execz .LBB0_15
; %bb.14:
	ds_read_b128 v[44:47], v191 offset:4320
	ds_read_b128 v[48:51], v191 offset:9120
	;; [unrolled: 1-line block ×3, first 2 shown]
.LBB0_15:
	s_or_b64 exec, exec, s[2:3]
	s_waitcnt lgkmcnt(4)
	v_mul_f64 v[90:91], v[118:119], v[86:87]
	v_fmac_f64_e32 v[90:91], v[116:117], v[84:85]
	v_mul_f64 v[84:85], v[118:119], v[84:85]
	v_fma_f64 v[84:85], v[116:117], v[86:87], -v[84:85]
	v_mul_f64 v[86:87], v[122:123], v[78:79]
	v_fmac_f64_e32 v[86:87], v[120:121], v[76:77]
	v_mul_f64 v[76:77], v[122:123], v[76:77]
	v_fma_f64 v[76:77], v[120:121], v[78:79], -v[76:77]
	s_waitcnt lgkmcnt(2)
	v_mul_f64 v[78:79], v[126:127], v[82:83]
	s_waitcnt lgkmcnt(0)
	v_mul_f64 v[98:99], v[138:139], v[66:67]
	v_fmac_f64_e32 v[78:79], v[124:125], v[80:81]
	v_mul_f64 v[80:81], v[126:127], v[80:81]
	v_mul_f64 v[94:95], v[134:135], v[70:71]
	v_fmac_f64_e32 v[98:99], v[136:137], v[64:65]
	v_mul_f64 v[64:65], v[138:139], v[64:65]
	v_fma_f64 v[80:81], v[124:125], v[82:83], -v[80:81]
	v_mul_f64 v[82:83], v[130:131], v[74:75]
	v_fmac_f64_e32 v[94:95], v[132:133], v[68:69]
	v_mul_f64 v[68:69], v[134:135], v[68:69]
	v_fma_f64 v[100:101], v[136:137], v[66:67], -v[64:65]
	v_add_f64 v[66:67], v[90:91], v[86:87]
	s_mov_b32 s2, 0xe8584caa
	v_fmac_f64_e32 v[82:83], v[128:129], v[72:73]
	v_mul_f64 v[72:73], v[130:131], v[72:73]
	v_fma_f64 v[96:97], v[132:133], v[70:71], -v[68:69]
	v_add_f64 v[64:65], v[60:61], v[90:91]
	v_fmac_f64_e32 v[60:61], -0.5, v[66:67]
	v_add_f64 v[66:67], v[84:85], -v[76:77]
	s_mov_b32 s3, 0xbfebb67a
	s_mov_b32 s4, s2
	v_add_f64 v[70:71], v[84:85], v[76:77]
	v_fma_f64 v[92:93], v[128:129], v[74:75], -v[72:73]
	v_fma_f64 v[68:69], s[2:3], v[66:67], v[60:61]
	v_fmac_f64_e32 v[60:61], s[4:5], v[66:67]
	v_add_f64 v[66:67], v[62:63], v[84:85]
	v_fmac_f64_e32 v[62:63], -0.5, v[70:71]
	v_add_f64 v[72:73], v[90:91], -v[86:87]
	v_add_f64 v[74:75], v[78:79], v[82:83]
	v_fma_f64 v[70:71], s[4:5], v[72:73], v[62:63]
	v_fmac_f64_e32 v[62:63], s[2:3], v[72:73]
	v_add_f64 v[72:73], v[56:57], v[78:79]
	v_fmac_f64_e32 v[56:57], -0.5, v[74:75]
	v_add_f64 v[74:75], v[80:81], -v[92:93]
	v_add_f64 v[66:67], v[66:67], v[76:77]
	v_fma_f64 v[76:77], s[2:3], v[74:75], v[56:57]
	v_fmac_f64_e32 v[56:57], s[4:5], v[74:75]
	v_add_f64 v[74:75], v[58:59], v[80:81]
	v_add_f64 v[80:81], v[80:81], v[92:93]
	;; [unrolled: 1-line block ×3, first 2 shown]
	v_fmac_f64_e32 v[58:59], -0.5, v[80:81]
	v_add_f64 v[80:81], v[78:79], -v[82:83]
	v_add_f64 v[82:83], v[94:95], v[98:99]
	v_add_f64 v[64:65], v[64:65], v[86:87]
	v_fma_f64 v[78:79], s[4:5], v[80:81], v[58:59]
	v_fmac_f64_e32 v[58:59], s[2:3], v[80:81]
	v_add_f64 v[80:81], v[52:53], v[94:95]
	v_fmac_f64_e32 v[52:53], -0.5, v[82:83]
	v_add_f64 v[82:83], v[96:97], -v[100:101]
	v_add_f64 v[86:87], v[96:97], v[100:101]
	v_fma_f64 v[84:85], s[2:3], v[82:83], v[52:53]
	v_fmac_f64_e32 v[52:53], s[4:5], v[82:83]
	v_add_f64 v[82:83], v[54:55], v[96:97]
	v_fmac_f64_e32 v[54:55], -0.5, v[86:87]
	v_add_f64 v[90:91], v[94:95], -v[98:99]
	v_add_f64 v[74:75], v[74:75], v[92:93]
	v_add_f64 v[80:81], v[80:81], v[98:99]
	;; [unrolled: 1-line block ×3, first 2 shown]
	v_fma_f64 v[86:87], s[4:5], v[90:91], v[54:55]
	v_fmac_f64_e32 v[54:55], s[2:3], v[90:91]
	ds_write_b128 v191, v[64:67]
	ds_write_b128 v172, v[68:71] offset:4800
	ds_write_b128 v172, v[60:63] offset:9600
	;; [unrolled: 1-line block ×8, first 2 shown]
	s_and_saveexec_b64 s[6:7], s[0:1]
	s_cbranch_execz .LBB0_17
; %bb.16:
	v_mul_f64 v[52:53], v[110:111], v[48:49]
	v_fma_f64 v[54:55], v[108:109], v[50:51], -v[52:53]
	v_mul_f64 v[52:53], v[114:115], v[40:41]
	v_mul_f64 v[58:59], v[110:111], v[50:51]
	v_fma_f64 v[56:57], v[112:113], v[42:43], -v[52:53]
	v_fmac_f64_e32 v[58:59], v[108:109], v[48:49]
	v_mul_f64 v[48:49], v[114:115], v[42:43]
	v_add_f64 v[52:53], v[54:55], v[56:57]
	v_fmac_f64_e32 v[48:49], v[112:113], v[40:41]
	v_fma_f64 v[52:53], -0.5, v[52:53], v[46:47]
	v_add_f64 v[40:41], v[58:59], -v[48:49]
	v_fma_f64 v[42:43], s[2:3], v[40:41], v[52:53]
	v_fmac_f64_e32 v[52:53], s[4:5], v[40:41]
	v_add_f64 v[40:41], v[46:47], v[54:55]
	v_add_f64 v[46:47], v[40:41], v[56:57]
	;; [unrolled: 1-line block ×3, first 2 shown]
	v_fma_f64 v[50:51], -0.5, v[40:41], v[44:45]
	v_add_f64 v[44:45], v[44:45], v[58:59]
	v_add_f64 v[54:55], v[54:55], -v[56:57]
	v_add_f64 v[44:45], v[44:45], v[48:49]
	v_fma_f64 v[40:41], s[4:5], v[54:55], v[50:51]
	v_fmac_f64_e32 v[50:51], s[2:3], v[54:55]
	ds_write_b128 v191, v[44:47] offset:4320
	ds_write_b128 v172, v[50:53] offset:9120
	;; [unrolled: 1-line block ×3, first 2 shown]
.LBB0_17:
	s_or_b64 exec, exec, s[6:7]
	s_waitcnt lgkmcnt(0)
	s_barrier
	ds_read_b128 v[40:43], v191
	v_mad_u64_u32 v[52:53], s[0:1], s10, v190, 0
	v_mov_b32_e32 v44, v53
	v_mad_u64_u32 v[44:45], s[0:1], s11, v190, v[44:45]
	v_mov_b32_e32 v53, v44
	ds_read_b128 v[44:47], v191 offset:1440
	s_waitcnt lgkmcnt(1)
	v_mul_f64 v[48:49], v[26:27], v[42:43]
	s_mov_b32 s0, 0x789abcdf
	v_mul_f64 v[26:27], v[26:27], v[40:41]
	v_fmac_f64_e32 v[48:49], v[24:25], v[40:41]
	s_mov_b32 s1, 0x3f523456
	v_fma_f64 v[24:25], v[24:25], v[42:43], -v[26:27]
	v_mul_f64 v[50:51], v[24:25], s[0:1]
	v_mad_u64_u32 v[24:25], s[2:3], s8, v188, 0
	v_mov_b32_e32 v26, v25
	v_mad_u64_u32 v[26:27], s[2:3], s9, v188, v[26:27]
	v_mov_b32_e32 v25, v26
	v_lshlrev_b64 v[26:27], 4, v[52:53]
	v_mov_b32_e32 v40, s17
	v_add_co_u32_e32 v26, vcc, s16, v26
	v_addc_co_u32_e32 v27, vcc, v40, v27, vcc
	v_lshlrev_b64 v[24:25], 4, v[24:25]
	v_add_co_u32_e32 v40, vcc, v26, v24
	v_addc_co_u32_e32 v41, vcc, v27, v25, vcc
	s_waitcnt lgkmcnt(0)
	v_mul_f64 v[24:25], v[18:19], v[46:47]
	v_mul_f64 v[18:19], v[18:19], v[44:45]
	v_fmac_f64_e32 v[24:25], v[16:17], v[44:45]
	v_fma_f64 v[16:17], v[16:17], v[46:47], -v[18:19]
	v_mov_b32_e32 v46, 0x5a0
	v_mad_u64_u32 v[44:45], s[2:3], s8, v46, v[40:41]
	v_mul_f64 v[26:27], v[16:17], s[0:1]
	ds_read_b128 v[16:19], v191 offset:2880
	s_mul_i32 s2, s9, 0x5a0
	v_mul_f64 v[48:49], v[48:49], s[0:1]
	v_mul_f64 v[24:25], v[24:25], s[0:1]
	v_add_u32_e32 v45, s2, v45
	global_store_dwordx4 v[40:41], v[48:51], off
	global_store_dwordx4 v[44:45], v[24:27], off
	ds_read_b128 v[24:27], v191 offset:4320
	s_waitcnt lgkmcnt(1)
	v_mul_f64 v[40:41], v[2:3], v[18:19]
	v_mul_f64 v[2:3], v[2:3], v[16:17]
	v_fmac_f64_e32 v[40:41], v[0:1], v[16:17]
	v_fma_f64 v[0:1], v[0:1], v[18:19], -v[2:3]
	v_mad_u64_u32 v[44:45], s[4:5], s8, v46, v[44:45]
	v_mul_f64 v[42:43], v[0:1], s[0:1]
	v_add_u32_e32 v45, s2, v45
	s_waitcnt lgkmcnt(0)
	v_mul_f64 v[0:1], v[34:35], v[26:27]
	v_mul_f64 v[2:3], v[34:35], v[24:25]
	v_fmac_f64_e32 v[0:1], v[32:33], v[24:25]
	v_fma_f64 v[2:3], v[32:33], v[26:27], -v[2:3]
	ds_read_b128 v[16:19], v191 offset:5760
	v_mad_u64_u32 v[32:33], s[4:5], s8, v46, v[44:45]
	v_mul_f64 v[40:41], v[40:41], s[0:1]
	v_mul_f64 v[0:1], v[0:1], s[0:1]
	;; [unrolled: 1-line block ×3, first 2 shown]
	v_add_u32_e32 v33, s2, v33
	global_store_dwordx4 v[44:45], v[40:43], off
	global_store_dwordx4 v[32:33], v[0:3], off
	ds_read_b128 v[0:3], v191 offset:7200
	s_waitcnt lgkmcnt(1)
	v_mul_f64 v[24:25], v[6:7], v[18:19]
	v_mul_f64 v[6:7], v[6:7], v[16:17]
	v_fmac_f64_e32 v[24:25], v[4:5], v[16:17]
	v_fma_f64 v[4:5], v[4:5], v[18:19], -v[6:7]
	v_mul_f64 v[26:27], v[4:5], s[0:1]
	s_waitcnt lgkmcnt(0)
	v_mul_f64 v[4:5], v[30:31], v[2:3]
	v_fmac_f64_e32 v[4:5], v[28:29], v[0:1]
	v_mul_f64 v[0:1], v[30:31], v[0:1]
	v_mad_u64_u32 v[16:17], s[4:5], s8, v46, v[32:33]
	v_fma_f64 v[0:1], v[28:29], v[2:3], -v[0:1]
	v_mul_f64 v[24:25], v[24:25], s[0:1]
	v_add_u32_e32 v17, s2, v17
	v_mul_f64 v[6:7], v[0:1], s[0:1]
	ds_read_b128 v[0:3], v191 offset:8640
	global_store_dwordx4 v[16:17], v[24:27], off
	v_mul_f64 v[4:5], v[4:5], s[0:1]
	v_mad_u64_u32 v[24:25], s[4:5], s8, v46, v[16:17]
	v_add_u32_e32 v25, s2, v25
	global_store_dwordx4 v[24:25], v[4:7], off
	ds_read_b128 v[4:7], v191 offset:10080
	s_waitcnt lgkmcnt(1)
	v_mul_f64 v[16:17], v[10:11], v[2:3]
	v_fmac_f64_e32 v[16:17], v[8:9], v[0:1]
	v_mul_f64 v[0:1], v[10:11], v[0:1]
	v_fma_f64 v[0:1], v[8:9], v[2:3], -v[0:1]
	v_mul_f64 v[18:19], v[0:1], s[0:1]
	v_mad_u64_u32 v[8:9], s[4:5], s8, v46, v[24:25]
	s_waitcnt lgkmcnt(0)
	v_mul_f64 v[0:1], v[38:39], v[6:7]
	v_mul_f64 v[2:3], v[38:39], v[4:5]
	;; [unrolled: 1-line block ×3, first 2 shown]
	v_add_u32_e32 v9, s2, v9
	v_fmac_f64_e32 v[0:1], v[36:37], v[4:5]
	v_fma_f64 v[2:3], v[36:37], v[6:7], -v[2:3]
	ds_read_b128 v[4:7], v191 offset:11520
	global_store_dwordx4 v[8:9], v[16:19], off
	v_mul_f64 v[0:1], v[0:1], s[0:1]
	v_mad_u64_u32 v[16:17], s[4:5], s8, v46, v[8:9]
	v_mul_f64 v[2:3], v[2:3], s[0:1]
	v_add_u32_e32 v17, s2, v17
	global_store_dwordx4 v[16:17], v[0:3], off
	ds_read_b128 v[0:3], v191 offset:12960
	s_waitcnt lgkmcnt(1)
	v_mul_f64 v[8:9], v[14:15], v[6:7]
	v_fmac_f64_e32 v[8:9], v[12:13], v[4:5]
	v_mul_f64 v[4:5], v[14:15], v[4:5]
	v_fma_f64 v[4:5], v[12:13], v[6:7], -v[4:5]
	v_mul_f64 v[10:11], v[4:5], s[0:1]
	s_waitcnt lgkmcnt(0)
	v_mul_f64 v[4:5], v[22:23], v[2:3]
	v_mad_u64_u32 v[12:13], s[4:5], s8, v46, v[16:17]
	v_fmac_f64_e32 v[4:5], v[20:21], v[0:1]
	v_mul_f64 v[0:1], v[22:23], v[0:1]
	v_add_u32_e32 v13, s2, v13
	v_fma_f64 v[0:1], v[20:21], v[2:3], -v[0:1]
	v_mul_f64 v[8:9], v[8:9], s[0:1]
	v_mul_f64 v[4:5], v[4:5], s[0:1]
	;; [unrolled: 1-line block ×3, first 2 shown]
	v_mad_u64_u32 v[0:1], s[0:1], s8, v46, v[12:13]
	v_add_u32_e32 v1, s2, v1
	global_store_dwordx4 v[12:13], v[8:11], off
	global_store_dwordx4 v[0:1], v[4:7], off
.LBB0_18:
	s_endpgm
	.section	.rodata,"a",@progbits
	.p2align	6, 0x0
	.amdhsa_kernel bluestein_single_back_len900_dim1_dp_op_CI_CI
		.amdhsa_group_segment_fixed_size 28800
		.amdhsa_private_segment_fixed_size 0
		.amdhsa_kernarg_size 104
		.amdhsa_user_sgpr_count 6
		.amdhsa_user_sgpr_private_segment_buffer 1
		.amdhsa_user_sgpr_dispatch_ptr 0
		.amdhsa_user_sgpr_queue_ptr 0
		.amdhsa_user_sgpr_kernarg_segment_ptr 1
		.amdhsa_user_sgpr_dispatch_id 0
		.amdhsa_user_sgpr_flat_scratch_init 0
		.amdhsa_user_sgpr_kernarg_preload_length 0
		.amdhsa_user_sgpr_kernarg_preload_offset 0
		.amdhsa_user_sgpr_private_segment_size 0
		.amdhsa_uses_dynamic_stack 0
		.amdhsa_system_sgpr_private_segment_wavefront_offset 0
		.amdhsa_system_sgpr_workgroup_id_x 1
		.amdhsa_system_sgpr_workgroup_id_y 0
		.amdhsa_system_sgpr_workgroup_id_z 0
		.amdhsa_system_sgpr_workgroup_info 0
		.amdhsa_system_vgpr_workitem_id 0
		.amdhsa_next_free_vgpr 250
		.amdhsa_next_free_sgpr 26
		.amdhsa_accum_offset 252
		.amdhsa_reserve_vcc 1
		.amdhsa_reserve_flat_scratch 0
		.amdhsa_float_round_mode_32 0
		.amdhsa_float_round_mode_16_64 0
		.amdhsa_float_denorm_mode_32 3
		.amdhsa_float_denorm_mode_16_64 3
		.amdhsa_dx10_clamp 1
		.amdhsa_ieee_mode 1
		.amdhsa_fp16_overflow 0
		.amdhsa_tg_split 0
		.amdhsa_exception_fp_ieee_invalid_op 0
		.amdhsa_exception_fp_denorm_src 0
		.amdhsa_exception_fp_ieee_div_zero 0
		.amdhsa_exception_fp_ieee_overflow 0
		.amdhsa_exception_fp_ieee_underflow 0
		.amdhsa_exception_fp_ieee_inexact 0
		.amdhsa_exception_int_div_zero 0
	.end_amdhsa_kernel
	.text
.Lfunc_end0:
	.size	bluestein_single_back_len900_dim1_dp_op_CI_CI, .Lfunc_end0-bluestein_single_back_len900_dim1_dp_op_CI_CI
                                        ; -- End function
	.section	.AMDGPU.csdata,"",@progbits
; Kernel info:
; codeLenInByte = 12272
; NumSgprs: 30
; NumVgprs: 250
; NumAgprs: 0
; TotalNumVgprs: 250
; ScratchSize: 0
; MemoryBound: 0
; FloatMode: 240
; IeeeMode: 1
; LDSByteSize: 28800 bytes/workgroup (compile time only)
; SGPRBlocks: 3
; VGPRBlocks: 31
; NumSGPRsForWavesPerEU: 30
; NumVGPRsForWavesPerEU: 250
; AccumOffset: 252
; Occupancy: 2
; WaveLimiterHint : 1
; COMPUTE_PGM_RSRC2:SCRATCH_EN: 0
; COMPUTE_PGM_RSRC2:USER_SGPR: 6
; COMPUTE_PGM_RSRC2:TRAP_HANDLER: 0
; COMPUTE_PGM_RSRC2:TGID_X_EN: 1
; COMPUTE_PGM_RSRC2:TGID_Y_EN: 0
; COMPUTE_PGM_RSRC2:TGID_Z_EN: 0
; COMPUTE_PGM_RSRC2:TIDIG_COMP_CNT: 0
; COMPUTE_PGM_RSRC3_GFX90A:ACCUM_OFFSET: 62
; COMPUTE_PGM_RSRC3_GFX90A:TG_SPLIT: 0
	.text
	.p2alignl 6, 3212836864
	.fill 256, 4, 3212836864
	.type	__hip_cuid_ebba912021eea425,@object ; @__hip_cuid_ebba912021eea425
	.section	.bss,"aw",@nobits
	.globl	__hip_cuid_ebba912021eea425
__hip_cuid_ebba912021eea425:
	.byte	0                               ; 0x0
	.size	__hip_cuid_ebba912021eea425, 1

	.ident	"AMD clang version 19.0.0git (https://github.com/RadeonOpenCompute/llvm-project roc-6.4.0 25133 c7fe45cf4b819c5991fe208aaa96edf142730f1d)"
	.section	".note.GNU-stack","",@progbits
	.addrsig
	.addrsig_sym __hip_cuid_ebba912021eea425
	.amdgpu_metadata
---
amdhsa.kernels:
  - .agpr_count:     0
    .args:
      - .actual_access:  read_only
        .address_space:  global
        .offset:         0
        .size:           8
        .value_kind:     global_buffer
      - .actual_access:  read_only
        .address_space:  global
        .offset:         8
        .size:           8
        .value_kind:     global_buffer
      - .actual_access:  read_only
        .address_space:  global
        .offset:         16
        .size:           8
        .value_kind:     global_buffer
      - .actual_access:  read_only
        .address_space:  global
        .offset:         24
        .size:           8
        .value_kind:     global_buffer
      - .actual_access:  read_only
        .address_space:  global
        .offset:         32
        .size:           8
        .value_kind:     global_buffer
      - .offset:         40
        .size:           8
        .value_kind:     by_value
      - .address_space:  global
        .offset:         48
        .size:           8
        .value_kind:     global_buffer
      - .address_space:  global
        .offset:         56
        .size:           8
        .value_kind:     global_buffer
      - .address_space:  global
        .offset:         64
        .size:           8
        .value_kind:     global_buffer
      - .address_space:  global
        .offset:         72
        .size:           8
        .value_kind:     global_buffer
      - .offset:         80
        .size:           4
        .value_kind:     by_value
      - .address_space:  global
        .offset:         88
        .size:           8
        .value_kind:     global_buffer
      - .address_space:  global
        .offset:         96
        .size:           8
        .value_kind:     global_buffer
    .group_segment_fixed_size: 28800
    .kernarg_segment_align: 8
    .kernarg_segment_size: 104
    .language:       OpenCL C
    .language_version:
      - 2
      - 0
    .max_flat_workgroup_size: 180
    .name:           bluestein_single_back_len900_dim1_dp_op_CI_CI
    .private_segment_fixed_size: 0
    .sgpr_count:     30
    .sgpr_spill_count: 0
    .symbol:         bluestein_single_back_len900_dim1_dp_op_CI_CI.kd
    .uniform_work_group_size: 1
    .uses_dynamic_stack: false
    .vgpr_count:     250
    .vgpr_spill_count: 0
    .wavefront_size: 64
amdhsa.target:   amdgcn-amd-amdhsa--gfx90a
amdhsa.version:
  - 1
  - 2
...

	.end_amdgpu_metadata
